;; amdgpu-corpus repo=ROCm/rocFFT kind=compiled arch=gfx906 opt=O3
	.text
	.amdgcn_target "amdgcn-amd-amdhsa--gfx906"
	.amdhsa_code_object_version 6
	.protected	bluestein_single_back_len1375_dim1_half_op_CI_CI ; -- Begin function bluestein_single_back_len1375_dim1_half_op_CI_CI
	.globl	bluestein_single_back_len1375_dim1_half_op_CI_CI
	.p2align	8
	.type	bluestein_single_back_len1375_dim1_half_op_CI_CI,@function
bluestein_single_back_len1375_dim1_half_op_CI_CI: ; @bluestein_single_back_len1375_dim1_half_op_CI_CI
; %bb.0:
	s_load_dwordx4 s[8:11], s[4:5], 0x28
	v_mul_u32_u24_e32 v1, 0x4a8, v0
	v_add_u32_sdwa v58, s6, v1 dst_sel:DWORD dst_unused:UNUSED_PAD src0_sel:DWORD src1_sel:WORD_1
	v_mov_b32_e32 v59, 0
	s_waitcnt lgkmcnt(0)
	v_cmp_gt_u64_e32 vcc, s[8:9], v[58:59]
	s_and_saveexec_b64 s[0:1], vcc
	s_cbranch_execz .LBB0_15
; %bb.1:
	s_load_dwordx4 s[0:3], s[4:5], 0x18
	s_load_dwordx2 s[6:7], s[4:5], 0x0
	v_mov_b32_e32 v2, 55
	v_mul_lo_u16_sdwa v1, v1, v2 dst_sel:DWORD dst_unused:UNUSED_PAD src0_sel:WORD_1 src1_sel:DWORD
	v_sub_u16_e32 v92, v0, v1
	s_waitcnt lgkmcnt(0)
	s_load_dwordx4 s[12:15], s[0:1], 0x0
	v_lshlrev_b32_e32 v91, 2, v92
	global_load_dword v114, v91, s[6:7]
	v_mov_b32_e32 v13, s7
	s_waitcnt lgkmcnt(0)
	v_mad_u64_u32 v[0:1], s[0:1], s14, v58, 0
	v_mad_u64_u32 v[2:3], s[0:1], s12, v92, 0
	;; [unrolled: 1-line block ×4, first 2 shown]
	v_mov_b32_e32 v1, v4
	v_lshlrev_b64 v[0:1], 2, v[0:1]
	v_mov_b32_e32 v6, s11
	v_mov_b32_e32 v3, v5
	v_add_co_u32_e32 v4, vcc, s10, v0
	v_addc_co_u32_e32 v5, vcc, v6, v1, vcc
	v_lshlrev_b64 v[0:1], 2, v[2:3]
	s_mul_i32 s0, s13, 0x7d
	s_mul_hi_u32 s1, s12, 0x7d
	v_add_co_u32_e32 v0, vcc, v4, v0
	s_add_i32 s1, s1, s0
	s_mul_i32 s0, s12, 0x7d
	v_addc_co_u32_e32 v1, vcc, v5, v1, vcc
	s_lshl_b64 s[16:17], s[0:1], 2
	global_load_dword v2, v[0:1], off
	v_mov_b32_e32 v6, s17
	v_add_co_u32_e32 v0, vcc, s16, v0
	v_addc_co_u32_e32 v1, vcc, v1, v6, vcc
	global_load_dword v3, v[0:1], off
	global_load_dword v113, v91, s[6:7] offset:500
	v_add_co_u32_e32 v0, vcc, s16, v0
	v_addc_co_u32_e32 v1, vcc, v1, v6, vcc
	global_load_dword v7, v[0:1], off
	global_load_dword v112, v91, s[6:7] offset:1000
	;; [unrolled: 4-line block ×6, first 2 shown]
	v_add_co_u32_e32 v0, vcc, s16, v0
	v_addc_co_u32_e32 v1, vcc, v1, v6, vcc
	s_load_dwordx2 s[14:15], s[4:5], 0x38
	s_load_dwordx4 s[8:11], s[2:3], 0x0
	global_load_dword v12, v[0:1], off
	global_load_dword v106, v91, s[6:7] offset:3500
	v_add_co_u32_e32 v56, vcc, s6, v91
	v_addc_co_u32_e32 v57, vcc, 0, v13, vcc
	v_add_co_u32_e32 v0, vcc, s16, v0
	v_addc_co_u32_e32 v1, vcc, v1, v6, vcc
	global_load_dword v100, v91, s[6:7] offset:1720
	global_load_dword v101, v91, s[6:7] offset:1220
	;; [unrolled: 1-line block ×5, first 2 shown]
	s_movk_i32 s0, 0x1000
	s_mul_hi_u32 s1, s12, 0xfffffb55
	s_sub_i32 s1, s1, s12
	s_waitcnt vmcnt(19)
	v_lshrrev_b32_e32 v13, 16, v2
	v_mul_f16_sdwa v14, v114, v2 dst_sel:DWORD dst_unused:UNUSED_PAD src0_sel:WORD_1 src1_sel:DWORD
	v_mul_f16_sdwa v15, v114, v13 dst_sel:DWORD dst_unused:UNUSED_PAD src0_sel:WORD_1 src1_sel:DWORD
	v_fma_f16 v13, v114, v13, -v14
	v_fma_f16 v2, v114, v2, v15
	s_waitcnt vmcnt(18)
	v_lshrrev_b32_e32 v14, 16, v3
	s_waitcnt vmcnt(17)
	v_mul_f16_sdwa v16, v113, v3 dst_sel:DWORD dst_unused:UNUSED_PAD src0_sel:WORD_1 src1_sel:DWORD
	v_mul_f16_sdwa v15, v113, v14 dst_sel:DWORD dst_unused:UNUSED_PAD src0_sel:WORD_1 src1_sel:DWORD
	v_fma_f16 v14, v113, v14, -v16
	v_pack_b32_f16 v13, v2, v13
	s_waitcnt vmcnt(16)
	v_lshrrev_b32_e32 v16, 16, v7
	v_fma_f16 v2, v113, v3, v15
	s_waitcnt vmcnt(15)
	v_mul_f16_sdwa v3, v112, v16 dst_sel:DWORD dst_unused:UNUSED_PAD src0_sel:WORD_1 src1_sel:DWORD
	v_mul_f16_sdwa v17, v112, v7 dst_sel:DWORD dst_unused:UNUSED_PAD src0_sel:WORD_1 src1_sel:DWORD
	v_fma_f16 v3, v112, v7, v3
	global_load_dword v7, v[0:1], off
	v_fma_f16 v15, v112, v16, -v17
	v_pack_b32_f16 v2, v2, v14
	ds_write_b32 v91, v2 offset:500
	v_pack_b32_f16 v2, v3, v15
	ds_write_b32 v91, v2 offset:1000
	s_waitcnt vmcnt(15)
	v_lshrrev_b32_e32 v2, 16, v8
	s_waitcnt vmcnt(14)
	v_mul_f16_sdwa v3, v111, v2 dst_sel:DWORD dst_unused:UNUSED_PAD src0_sel:WORD_1 src1_sel:DWORD
	v_fma_f16 v3, v111, v8, v3
	v_mul_f16_sdwa v8, v111, v8 dst_sel:DWORD dst_unused:UNUSED_PAD src0_sel:WORD_1 src1_sel:DWORD
	v_fma_f16 v2, v111, v2, -v8
	v_pack_b32_f16 v2, v3, v2
	ds_write_b32 v91, v2 offset:1500
	s_waitcnt vmcnt(13)
	v_lshrrev_b32_e32 v2, 16, v9
	s_waitcnt vmcnt(12)
	v_mul_f16_sdwa v3, v110, v2 dst_sel:DWORD dst_unused:UNUSED_PAD src0_sel:WORD_1 src1_sel:DWORD
	v_mul_f16_sdwa v8, v110, v9 dst_sel:DWORD dst_unused:UNUSED_PAD src0_sel:WORD_1 src1_sel:DWORD
	v_fma_f16 v3, v110, v9, v3
	v_fma_f16 v2, v110, v2, -v8
	v_pack_b32_f16 v2, v3, v2
	s_waitcnt vmcnt(11)
	v_lshrrev_b32_e32 v8, 16, v10
	global_load_dword v95, v91, s[6:7] offset:3720
	global_load_dword v97, v91, s[6:7] offset:3220
	global_load_dword v98, v91, s[6:7] offset:2720
	global_load_dword v99, v91, s[6:7] offset:2220
	ds_write_b32 v91, v2 offset:2000
	s_waitcnt vmcnt(14)
	v_mul_f16_sdwa v2, v109, v8 dst_sel:DWORD dst_unused:UNUSED_PAD src0_sel:WORD_1 src1_sel:DWORD
	v_fma_f16 v9, v109, v10, v2
	v_add_co_u32_e32 v2, vcc, s16, v0
	v_mul_f16_sdwa v0, v109, v10 dst_sel:DWORD dst_unused:UNUSED_PAD src0_sel:WORD_1 src1_sel:DWORD
	v_fma_f16 v0, v109, v8, -v0
	v_pack_b32_f16 v0, v9, v0
	s_waitcnt vmcnt(13)
	v_lshrrev_b32_e32 v8, 16, v11
	v_addc_co_u32_e32 v3, vcc, v1, v6, vcc
	ds_write_b32 v91, v0 offset:2500
	s_waitcnt vmcnt(12)
	v_mul_f16_sdwa v0, v108, v8 dst_sel:DWORD dst_unused:UNUSED_PAD src0_sel:WORD_1 src1_sel:DWORD
	v_fma_f16 v9, v108, v11, v0
	v_add_co_u32_e32 v0, vcc, s0, v56
	global_load_dword v14, v[2:3], off
	v_addc_co_u32_e32 v1, vcc, 0, v57, vcc
	global_load_dword v105, v[0:1], off offset:404
	v_mul_f16_sdwa v10, v108, v11 dst_sel:DWORD dst_unused:UNUSED_PAD src0_sel:WORD_1 src1_sel:DWORD
	v_fma_f16 v8, v108, v8, -v10
	v_pack_b32_f16 v8, v9, v8
	v_add_co_u32_e32 v2, vcc, s16, v2
	ds_write_b32 v91, v8 offset:3000
	v_addc_co_u32_e32 v3, vcc, v3, v6, vcc
	s_mul_i32 s0, s13, 0xfffffb55
	global_load_dword v10, v[2:3], off
	global_load_dword v104, v[0:1], off offset:904
	s_add_i32 s1, s1, s0
	s_mul_i32 s0, s12, 0xfffffb55
	s_lshl_b64 s[0:1], s[0:1], 2
	v_mov_b32_e32 v11, s1
	v_add_co_u32_e32 v2, vcc, s0, v2
	v_addc_co_u32_e32 v3, vcc, v3, v11, vcc
	global_load_dword v11, v[2:3], off
	v_add_co_u32_e32 v2, vcc, s16, v2
	v_addc_co_u32_e32 v3, vcc, v3, v6, vcc
	s_waitcnt vmcnt(16)
	v_lshrrev_b32_e32 v8, 16, v12
	global_load_dword v15, v[2:3], off
	s_waitcnt vmcnt(16)
	v_mul_f16_sdwa v9, v106, v8 dst_sel:DWORD dst_unused:UNUSED_PAD src0_sel:WORD_1 src1_sel:DWORD
	v_fma_f16 v9, v106, v12, v9
	v_mul_f16_sdwa v12, v106, v12 dst_sel:DWORD dst_unused:UNUSED_PAD src0_sel:WORD_1 src1_sel:DWORD
	v_add_co_u32_e32 v2, vcc, s16, v2
	v_fma_f16 v8, v106, v8, -v12
	v_addc_co_u32_e32 v3, vcc, v3, v6, vcc
	v_pack_b32_f16 v8, v9, v8
	global_load_dword v9, v[2:3], off
	v_add_co_u32_e32 v2, vcc, s16, v2
	v_addc_co_u32_e32 v3, vcc, v3, v6, vcc
	global_load_dword v12, v[2:3], off
	v_add_co_u32_e32 v2, vcc, s16, v2
	v_addc_co_u32_e32 v3, vcc, v3, v6, vcc
	global_load_dword v17, v[2:3], off
	ds_write_b32 v91, v8 offset:3500
	s_waitcnt vmcnt(13)
	v_lshrrev_b32_e32 v8, 16, v7
	v_mul_f16_sdwa v16, v107, v8 dst_sel:DWORD dst_unused:UNUSED_PAD src0_sel:WORD_1 src1_sel:DWORD
	v_add_co_u32_e32 v2, vcc, s16, v2
	v_fma_f16 v16, v107, v7, v16
	v_mul_f16_sdwa v7, v107, v7 dst_sel:DWORD dst_unused:UNUSED_PAD src0_sel:WORD_1 src1_sel:DWORD
	v_addc_co_u32_e32 v3, vcc, v3, v6, vcc
	v_fma_f16 v7, v107, v8, -v7
	global_load_dword v8, v[2:3], off
	v_add_co_u32_e32 v2, vcc, s16, v2
	v_pack_b32_f16 v7, v16, v7
	v_addc_co_u32_e32 v3, vcc, v3, v6, vcc
	ds_write_b32 v91, v7 offset:4000
	global_load_dword v7, v[2:3], off
	v_add_co_u32_e32 v2, vcc, s16, v2
	v_addc_co_u32_e32 v3, vcc, v3, v6, vcc
	global_load_dword v18, v[2:3], off
	v_add_co_u32_e32 v2, vcc, s16, v2
	v_addc_co_u32_e32 v3, vcc, v3, v6, vcc
	global_load_dword v19, v[2:3], off
	global_load_dword v93, v[0:1], off offset:1124
	global_load_dword v94, v[0:1], off offset:624
	;; [unrolled: 1-line block ×3, first 2 shown]
	v_add_co_u32_e32 v2, vcc, s16, v2
	v_addc_co_u32_e32 v3, vcc, v3, v6, vcc
	global_load_dword v21, v[2:3], off
	v_add_co_u32_e32 v2, vcc, s16, v2
	v_addc_co_u32_e32 v3, vcc, v3, v6, vcc
	global_load_dword v6, v[2:3], off
	s_waitcnt vmcnt(17)
	v_lshrrev_b32_e32 v16, 16, v14
	s_waitcnt vmcnt(16)
	v_mul_f16_sdwa v20, v105, v16 dst_sel:DWORD dst_unused:UNUSED_PAD src0_sel:WORD_1 src1_sel:DWORD
	v_fma_f16 v20, v105, v14, v20
	v_mul_f16_sdwa v14, v105, v14 dst_sel:DWORD dst_unused:UNUSED_PAD src0_sel:WORD_1 src1_sel:DWORD
	v_fma_f16 v14, v105, v16, -v14
	v_pack_b32_f16 v14, v20, v14
	ds_write_b32 v91, v14 offset:4500
	s_waitcnt vmcnt(15)
	v_lshrrev_b32_e32 v14, 16, v10
	s_waitcnt vmcnt(14)
	v_mul_f16_sdwa v16, v104, v14 dst_sel:DWORD dst_unused:UNUSED_PAD src0_sel:WORD_1 src1_sel:DWORD
	v_fma_f16 v16, v104, v10, v16
	v_mul_f16_sdwa v10, v104, v10 dst_sel:DWORD dst_unused:UNUSED_PAD src0_sel:WORD_1 src1_sel:DWORD
	v_fma_f16 v10, v104, v14, -v10
	v_pack_b32_f16 v10, v16, v10
	ds_write_b32 v91, v10 offset:5000
	v_cmp_gt_u16_e32 vcc, 15, v92
	s_waitcnt vmcnt(13)
	v_lshrrev_b32_e32 v10, 16, v11
	v_mul_f16_sdwa v14, v103, v10 dst_sel:DWORD dst_unused:UNUSED_PAD src0_sel:WORD_1 src1_sel:DWORD
	v_fma_f16 v14, v103, v11, v14
	v_mul_f16_sdwa v11, v103, v11 dst_sel:DWORD dst_unused:UNUSED_PAD src0_sel:WORD_1 src1_sel:DWORD
	v_fma_f16 v10, v103, v10, -v11
	v_pack_b32_f16 v10, v14, v10
	ds_write2_b32 v91, v13, v10 offset1:55
	s_waitcnt vmcnt(12)
	v_lshrrev_b32_e32 v10, 16, v15
	v_mul_f16_sdwa v11, v102, v10 dst_sel:DWORD dst_unused:UNUSED_PAD src0_sel:WORD_1 src1_sel:DWORD
	v_mul_f16_sdwa v13, v102, v15 dst_sel:DWORD dst_unused:UNUSED_PAD src0_sel:WORD_1 src1_sel:DWORD
	v_fma_f16 v11, v102, v15, v11
	v_fma_f16 v10, v102, v10, -v13
	v_pack_b32_f16 v10, v11, v10
	ds_write_b32 v91, v10 offset:720
	s_waitcnt vmcnt(11)
	v_lshrrev_b32_e32 v10, 16, v9
	v_mul_f16_sdwa v11, v101, v10 dst_sel:DWORD dst_unused:UNUSED_PAD src0_sel:WORD_1 src1_sel:DWORD
	v_fma_f16 v11, v101, v9, v11
	v_mul_f16_sdwa v9, v101, v9 dst_sel:DWORD dst_unused:UNUSED_PAD src0_sel:WORD_1 src1_sel:DWORD
	v_fma_f16 v9, v101, v10, -v9
	v_pack_b32_f16 v9, v11, v9
	ds_write_b32 v91, v9 offset:1220
	s_waitcnt vmcnt(10)
	v_lshrrev_b32_e32 v9, 16, v12
	v_mul_f16_sdwa v10, v100, v9 dst_sel:DWORD dst_unused:UNUSED_PAD src0_sel:WORD_1 src1_sel:DWORD
	v_mul_f16_sdwa v11, v100, v12 dst_sel:DWORD dst_unused:UNUSED_PAD src0_sel:WORD_1 src1_sel:DWORD
	v_fma_f16 v10, v100, v12, v10
	v_fma_f16 v9, v100, v9, -v11
	v_pack_b32_f16 v9, v10, v9
	ds_write_b32 v91, v9 offset:1720
	s_waitcnt vmcnt(9)
	v_lshrrev_b32_e32 v9, 16, v17
	v_mul_f16_sdwa v10, v99, v9 dst_sel:DWORD dst_unused:UNUSED_PAD src0_sel:WORD_1 src1_sel:DWORD
	v_mul_f16_sdwa v11, v99, v17 dst_sel:DWORD dst_unused:UNUSED_PAD src0_sel:WORD_1 src1_sel:DWORD
	v_fma_f16 v10, v99, v17, v10
	v_fma_f16 v9, v99, v9, -v11
	v_pack_b32_f16 v9, v10, v9
	ds_write_b32 v91, v9 offset:2220
	s_waitcnt vmcnt(8)
	v_lshrrev_b32_e32 v9, 16, v8
	v_mul_f16_sdwa v10, v98, v9 dst_sel:DWORD dst_unused:UNUSED_PAD src0_sel:WORD_1 src1_sel:DWORD
	v_fma_f16 v10, v98, v8, v10
	v_mul_f16_sdwa v8, v98, v8 dst_sel:DWORD dst_unused:UNUSED_PAD src0_sel:WORD_1 src1_sel:DWORD
	v_fma_f16 v8, v98, v9, -v8
	v_pack_b32_f16 v8, v10, v8
	ds_write_b32 v91, v8 offset:2720
	s_waitcnt vmcnt(7)
	v_lshrrev_b32_e32 v8, 16, v7
	v_mul_f16_sdwa v9, v97, v8 dst_sel:DWORD dst_unused:UNUSED_PAD src0_sel:WORD_1 src1_sel:DWORD
	v_fma_f16 v9, v97, v7, v9
	v_mul_f16_sdwa v7, v97, v7 dst_sel:DWORD dst_unused:UNUSED_PAD src0_sel:WORD_1 src1_sel:DWORD
	v_fma_f16 v7, v97, v8, -v7
	v_pack_b32_f16 v7, v9, v7
	ds_write_b32 v91, v7 offset:3220
	s_waitcnt vmcnt(6)
	v_lshrrev_b32_e32 v7, 16, v18
	v_mul_f16_sdwa v8, v95, v7 dst_sel:DWORD dst_unused:UNUSED_PAD src0_sel:WORD_1 src1_sel:DWORD
	v_mul_f16_sdwa v9, v95, v18 dst_sel:DWORD dst_unused:UNUSED_PAD src0_sel:WORD_1 src1_sel:DWORD
	v_fma_f16 v8, v95, v18, v8
	v_fma_f16 v7, v95, v7, -v9
	v_pack_b32_f16 v7, v8, v7
	ds_write_b32 v91, v7 offset:3720
	s_waitcnt vmcnt(5)
	v_lshrrev_b32_e32 v7, 16, v19
	s_waitcnt vmcnt(2)
	v_mul_f16_sdwa v8, v96, v7 dst_sel:DWORD dst_unused:UNUSED_PAD src0_sel:WORD_1 src1_sel:DWORD
	v_mul_f16_sdwa v9, v96, v19 dst_sel:DWORD dst_unused:UNUSED_PAD src0_sel:WORD_1 src1_sel:DWORD
	v_fma_f16 v8, v96, v19, v8
	v_fma_f16 v7, v96, v7, -v9
	v_pack_b32_f16 v7, v8, v7
	ds_write_b32 v91, v7 offset:4220
	s_waitcnt vmcnt(1)
	v_lshrrev_b32_e32 v7, 16, v21
	v_mul_f16_sdwa v8, v94, v7 dst_sel:DWORD dst_unused:UNUSED_PAD src0_sel:WORD_1 src1_sel:DWORD
	v_mul_f16_sdwa v9, v94, v21 dst_sel:DWORD dst_unused:UNUSED_PAD src0_sel:WORD_1 src1_sel:DWORD
	v_fma_f16 v8, v94, v21, v8
	v_fma_f16 v7, v94, v7, -v9
	v_pack_b32_f16 v7, v8, v7
	ds_write_b32 v91, v7 offset:4720
	s_waitcnt vmcnt(0)
	v_lshrrev_b32_e32 v7, 16, v6
	v_mul_f16_sdwa v8, v93, v7 dst_sel:DWORD dst_unused:UNUSED_PAD src0_sel:WORD_1 src1_sel:DWORD
	v_fma_f16 v8, v93, v6, v8
	v_mul_f16_sdwa v6, v93, v6 dst_sel:DWORD dst_unused:UNUSED_PAD src0_sel:WORD_1 src1_sel:DWORD
	v_fma_f16 v6, v93, v7, -v6
	v_pack_b32_f16 v6, v8, v6
	ds_write_b32 v91, v6 offset:5220
	s_and_saveexec_b64 s[2:3], vcc
	s_cbranch_execz .LBB0_3
; %bb.2:
	v_mov_b32_e32 v6, s1
	v_add_co_u32_e64 v2, s[0:1], s0, v2
	v_addc_co_u32_e64 v3, s[0:1], v3, v6, s[0:1]
	global_load_dword v9, v[2:3], off
	global_load_dword v10, v[56:57], off offset:440
	v_mov_b32_e32 v11, s17
	v_add_co_u32_e64 v2, s[0:1], s16, v2
	v_addc_co_u32_e64 v3, s[0:1], v3, v11, s[0:1]
	global_load_dword v12, v[2:3], off
	global_load_dword v13, v[56:57], off offset:940
	v_add_co_u32_e64 v2, s[0:1], s16, v2
	v_addc_co_u32_e64 v3, s[0:1], v3, v11, s[0:1]
	global_load_dword v14, v[2:3], off
	global_load_dword v15, v[56:57], off offset:1440
	;; [unrolled: 4-line block ×5, first 2 shown]
	v_add_co_u32_e64 v2, s[0:1], s16, v2
	v_addc_co_u32_e64 v3, s[0:1], v3, v11, s[0:1]
	global_load_dword v22, v[2:3], off
	v_add_co_u32_e64 v2, s[0:1], s16, v2
	v_addc_co_u32_e64 v3, s[0:1], v3, v11, s[0:1]
	v_or_b32_e32 v26, 0x550, v92
	global_load_dword v23, v[2:3], off
	global_load_dword v24, v[56:57], off offset:3440
	global_load_dword v25, v[56:57], off offset:3940
	v_mad_u64_u32 v[6:7], s[0:1], s12, v26, 0
	v_add_co_u32_e64 v2, s[0:1], s16, v2
	v_addc_co_u32_e64 v3, s[0:1], v3, v11, s[0:1]
	v_mad_u64_u32 v[7:8], s[0:1], s13, v26, v[7:8]
	global_load_dword v27, v[2:3], off
	global_load_dword v28, v[0:1], off offset:344
	v_add_co_u32_e64 v2, s[0:1], s16, v2
	v_addc_co_u32_e64 v3, s[0:1], v3, v11, s[0:1]
	global_load_dword v8, v[2:3], off
	global_load_dword v11, v[0:1], off offset:844
	v_lshlrev_b64 v[0:1], 2, v[6:7]
	v_add_co_u32_e64 v0, s[0:1], v4, v0
	v_addc_co_u32_e64 v1, s[0:1], v5, v1, s[0:1]
	global_load_dword v0, v[0:1], off
	v_lshlrev_b32_e32 v1, 2, v26
	global_load_dword v1, v1, s[6:7]
	s_waitcnt vmcnt(21)
	v_lshrrev_b32_e32 v2, 16, v9
	s_waitcnt vmcnt(20)
	v_mul_f16_sdwa v3, v10, v9 dst_sel:DWORD dst_unused:UNUSED_PAD src0_sel:WORD_1 src1_sel:DWORD
	v_mul_f16_sdwa v4, v10, v2 dst_sel:DWORD dst_unused:UNUSED_PAD src0_sel:WORD_1 src1_sel:DWORD
	v_fma_f16 v2, v10, v2, -v3
	v_fma_f16 v4, v10, v9, v4
	v_pack_b32_f16 v2, v4, v2
	s_waitcnt vmcnt(19)
	v_lshrrev_b32_e32 v3, 16, v12
	s_waitcnt vmcnt(18)
	v_mul_f16_sdwa v5, v13, v3 dst_sel:DWORD dst_unused:UNUSED_PAD src0_sel:WORD_1 src1_sel:DWORD
	v_fma_f16 v4, v13, v12, v5
	v_mul_f16_sdwa v5, v13, v12 dst_sel:DWORD dst_unused:UNUSED_PAD src0_sel:WORD_1 src1_sel:DWORD
	v_fma_f16 v3, v13, v3, -v5
	v_pack_b32_f16 v3, v4, v3
	ds_write2_b32 v91, v2, v3 offset0:110 offset1:235
	s_waitcnt vmcnt(17)
	v_lshrrev_b32_e32 v2, 16, v14
	s_waitcnt vmcnt(16)
	v_mul_f16_sdwa v3, v15, v2 dst_sel:DWORD dst_unused:UNUSED_PAD src0_sel:WORD_1 src1_sel:DWORD
	v_mul_f16_sdwa v4, v15, v14 dst_sel:DWORD dst_unused:UNUSED_PAD src0_sel:WORD_1 src1_sel:DWORD
	v_fma_f16 v3, v15, v14, v3
	v_fma_f16 v2, v15, v2, -v4
	v_pack_b32_f16 v2, v3, v2
	s_waitcnt vmcnt(15)
	v_lshrrev_b32_e32 v3, 16, v16
	s_waitcnt vmcnt(14)
	v_mul_f16_sdwa v4, v17, v3 dst_sel:DWORD dst_unused:UNUSED_PAD src0_sel:WORD_1 src1_sel:DWORD
	v_mul_f16_sdwa v5, v17, v16 dst_sel:DWORD dst_unused:UNUSED_PAD src0_sel:WORD_1 src1_sel:DWORD
	v_fma_f16 v4, v17, v16, v4
	v_fma_f16 v3, v17, v3, -v5
	v_pack_b32_f16 v3, v4, v3
	v_add_u32_e32 v4, 0x400, v91
	ds_write2_b32 v4, v2, v3 offset0:104 offset1:229
	s_waitcnt vmcnt(13)
	v_lshrrev_b32_e32 v2, 16, v18
	s_waitcnt vmcnt(12)
	v_mul_f16_sdwa v3, v19, v2 dst_sel:DWORD dst_unused:UNUSED_PAD src0_sel:WORD_1 src1_sel:DWORD
	v_mul_f16_sdwa v4, v19, v18 dst_sel:DWORD dst_unused:UNUSED_PAD src0_sel:WORD_1 src1_sel:DWORD
	v_fma_f16 v3, v19, v18, v3
	v_fma_f16 v2, v19, v2, -v4
	v_pack_b32_f16 v2, v3, v2
	s_waitcnt vmcnt(11)
	v_lshrrev_b32_e32 v3, 16, v20
	s_waitcnt vmcnt(10)
	v_mul_f16_sdwa v4, v21, v3 dst_sel:DWORD dst_unused:UNUSED_PAD src0_sel:WORD_1 src1_sel:DWORD
	v_mul_f16_sdwa v5, v21, v20 dst_sel:DWORD dst_unused:UNUSED_PAD src0_sel:WORD_1 src1_sel:DWORD
	v_fma_f16 v4, v21, v20, v4
	v_fma_f16 v3, v21, v3, -v5
	v_pack_b32_f16 v3, v4, v3
	v_add_u32_e32 v4, 0x800, v91
	ds_write2_b32 v4, v2, v3 offset0:98 offset1:223
	s_waitcnt vmcnt(9)
	v_lshrrev_b32_e32 v2, 16, v22
	s_waitcnt vmcnt(7)
	v_mul_f16_sdwa v3, v24, v2 dst_sel:DWORD dst_unused:UNUSED_PAD src0_sel:WORD_1 src1_sel:DWORD
	v_mul_f16_sdwa v4, v24, v22 dst_sel:DWORD dst_unused:UNUSED_PAD src0_sel:WORD_1 src1_sel:DWORD
	v_fma_f16 v3, v24, v22, v3
	v_fma_f16 v2, v24, v2, -v4
	v_pack_b32_f16 v2, v3, v2
	v_lshrrev_b32_e32 v3, 16, v23
	s_waitcnt vmcnt(6)
	v_mul_f16_sdwa v4, v25, v3 dst_sel:DWORD dst_unused:UNUSED_PAD src0_sel:WORD_1 src1_sel:DWORD
	v_mul_f16_sdwa v5, v25, v23 dst_sel:DWORD dst_unused:UNUSED_PAD src0_sel:WORD_1 src1_sel:DWORD
	v_fma_f16 v4, v25, v23, v4
	v_fma_f16 v3, v25, v3, -v5
	v_pack_b32_f16 v3, v4, v3
	v_add_u32_e32 v4, 0xc00, v91
	ds_write2_b32 v4, v2, v3 offset0:92 offset1:217
	s_waitcnt vmcnt(5)
	v_lshrrev_b32_e32 v2, 16, v27
	s_waitcnt vmcnt(4)
	v_mul_f16_sdwa v3, v28, v2 dst_sel:DWORD dst_unused:UNUSED_PAD src0_sel:WORD_1 src1_sel:DWORD
	v_mul_f16_sdwa v4, v28, v27 dst_sel:DWORD dst_unused:UNUSED_PAD src0_sel:WORD_1 src1_sel:DWORD
	v_fma_f16 v3, v28, v27, v3
	v_fma_f16 v2, v28, v2, -v4
	v_pack_b32_f16 v2, v3, v2
	s_waitcnt vmcnt(3)
	v_lshrrev_b32_e32 v3, 16, v8
	s_waitcnt vmcnt(2)
	v_mul_f16_sdwa v4, v11, v3 dst_sel:DWORD dst_unused:UNUSED_PAD src0_sel:WORD_1 src1_sel:DWORD
	v_mul_f16_sdwa v5, v11, v8 dst_sel:DWORD dst_unused:UNUSED_PAD src0_sel:WORD_1 src1_sel:DWORD
	v_fma_f16 v4, v11, v8, v4
	v_fma_f16 v3, v11, v3, -v5
	v_pack_b32_f16 v3, v4, v3
	v_add_u32_e32 v4, 0x1000, v91
	ds_write2_b32 v4, v2, v3 offset0:86 offset1:211
	s_waitcnt vmcnt(1)
	v_lshrrev_b32_e32 v2, 16, v0
	s_waitcnt vmcnt(0)
	v_mul_f16_sdwa v3, v1, v2 dst_sel:DWORD dst_unused:UNUSED_PAD src0_sel:WORD_1 src1_sel:DWORD
	v_fma_f16 v3, v1, v0, v3
	v_mul_f16_sdwa v0, v1, v0 dst_sel:DWORD dst_unused:UNUSED_PAD src0_sel:WORD_1 src1_sel:DWORD
	v_fma_f16 v0, v1, v2, -v0
	v_pack_b32_f16 v0, v3, v0
	ds_write_b32 v91, v0 offset:5440
.LBB0_3:
	s_or_b64 exec, exec, s[2:3]
	v_add_u32_e32 v0, 0x200, v91
	s_waitcnt lgkmcnt(0)
	; wave barrier
	s_waitcnt lgkmcnt(0)
	ds_read2_b32 v[10:11], v91 offset1:55
	ds_read2_b32 v[28:29], v91 offset0:125 offset1:180
	ds_read2_b32 v[24:25], v0 offset0:122 offset1:177
	v_add_u32_e32 v0, 0x600, v91
	ds_read2_b32 v[16:17], v0 offset0:116 offset1:171
	v_add_u32_e32 v0, 0xa00, v91
	;; [unrolled: 2-line block ×4, first 2 shown]
	v_add_u32_e32 v2, 0x400, v91
	v_add_u32_e32 v5, 0x800, v91
	;; [unrolled: 1-line block ×3, first 2 shown]
	ds_read2_b32 v[26:27], v0 offset0:101 offset1:156
	v_add_u32_e32 v0, 0x1200, v91
	s_load_dwordx2 s[2:3], s[4:5], 0x8
	ds_read2_b32 v[20:21], v2 offset0:119 offset1:174
	ds_read2_b32 v[12:13], v5 offset0:113 offset1:168
	;; [unrolled: 1-line block ×4, first 2 shown]
	v_mov_b32_e32 v0, 0
                                        ; implicit-def: $vgpr4
                                        ; implicit-def: $vgpr3
                                        ; implicit-def: $vgpr8
                                        ; implicit-def: $vgpr7
                                        ; implicit-def: $vgpr32
	s_and_saveexec_b64 s[0:1], vcc
	s_cbranch_execz .LBB0_5
; %bb.4:
	ds_read2_b32 v[0:1], v91 offset0:110 offset1:235
	ds_read2_b32 v[6:7], v2 offset0:104 offset1:229
	;; [unrolled: 1-line block ×4, first 2 shown]
	v_add_u32_e32 v8, 0x1000, v91
	ds_read2_b32 v[8:9], v8 offset0:86 offset1:211
	ds_read_b32 v32, v91 offset:5440
.LBB0_5:
	s_or_b64 exec, exec, s[0:1]
	s_waitcnt lgkmcnt(0)
	v_pk_add_f16 v44, v1, v32 neg_lo:[0,1] neg_hi:[0,1]
	s_mov_b32 s21, 0xbbeb
	v_pk_add_f16 v34, v32, v1
	s_mov_b32 s22, 0xbb47
	v_mul_f16_sdwa v51, v44, s21 dst_sel:DWORD dst_unused:UNUSED_PAD src0_sel:WORD_1 src1_sel:DWORD
	s_mov_b32 s13, 0xb08e
	v_pk_add_f16 v49, v6, v9 neg_lo:[0,1] neg_hi:[0,1]
	s_movk_i32 s25, 0x3482
	s_movk_i32 s4, 0x36a6
	v_mul_f16_sdwa v33, v44, s22 dst_sel:DWORD dst_unused:UNUSED_PAD src0_sel:WORD_1 src1_sel:DWORD
	v_fma_f16 v54, v34, s13, v51
	s_mov_b32 s20, 0xba0c
	s_mov_b32 s16, 0xbbad
	v_pk_add_f16 v37, v9, v6
	v_mul_f16_sdwa v53, v49, s25 dst_sel:DWORD dst_unused:UNUSED_PAD src0_sel:WORD_1 src1_sel:DWORD
	v_pk_add_f16 v48, v7, v8 neg_lo:[0,1] neg_hi:[0,1]
	s_movk_i32 s17, 0x3b47
	s_mov_b32 s19, 0xb853
	v_fma_f16 v40, v34, s4, v33
	s_mov_b32 s12, 0xb93d
	v_mul_f16_sdwa v35, v49, s20 dst_sel:DWORD dst_unused:UNUSED_PAD src0_sel:WORD_1 src1_sel:DWORD
	v_fma_f16 v59, v37, s16, v53
	v_pk_add_f16 v39, v8, v7
	v_mul_f16_sdwa v52, v48, s17 dst_sel:DWORD dst_unused:UNUSED_PAD src0_sel:WORD_1 src1_sel:DWORD
	v_pk_add_f16 v47, v2, v5 neg_lo:[0,1] neg_hi:[0,1]
	v_add_f16_e32 v54, v54, v0
	s_movk_i32 s5, 0x3abb
	v_fma_f16 v55, v37, s12, v35
	s_movk_i32 s23, 0x3beb
	v_mul_f16_sdwa v36, v48, s25 dst_sel:DWORD dst_unused:UNUSED_PAD src0_sel:WORD_1 src1_sel:DWORD
	v_fma_f16 v61, v39, s4, v52
	v_pk_add_f16 v42, v5, v2
	v_mul_f16_sdwa v50, v47, s19 dst_sel:DWORD dst_unused:UNUSED_PAD src0_sel:WORD_1 src1_sel:DWORD
	v_pk_add_f16 v45, v3, v4 neg_lo:[0,1] neg_hi:[0,1]
	v_add_f16_e32 v40, v40, v0
	v_add_f16_e32 v54, v59, v54
	s_movk_i32 s24, 0x3853
	v_fma_f16 v60, v39, s16, v36
	v_mul_f16_sdwa v38, v47, s23 dst_sel:DWORD dst_unused:UNUSED_PAD src0_sel:WORD_1 src1_sel:DWORD
	v_fma_f16 v63, v42, s5, v50
	v_pk_add_f16 v43, v4, v3
	v_mul_f16_sdwa v46, v45, s20 dst_sel:DWORD dst_unused:UNUSED_PAD src0_sel:WORD_1 src1_sel:DWORD
	v_add_f16_e32 v40, v55, v40
	v_add_f16_e32 v54, v61, v54
	v_fma_f16 v62, v42, s13, v38
	v_mul_f16_sdwa v41, v45, s24 dst_sel:DWORD dst_unused:UNUSED_PAD src0_sel:WORD_1 src1_sel:DWORD
	v_fma_f16 v65, v43, s12, v46
	v_add_f16_e32 v40, v60, v40
	v_add_f16_e32 v54, v63, v54
	v_fma_f16 v64, v43, s5, v41
	v_add_f16_e32 v40, v62, v40
	v_add_f16_e32 v59, v65, v54
	v_pk_add_f16 v54, v28, v30 neg_lo:[0,1] neg_hi:[0,1]
	v_add_f16_e32 v60, v64, v40
	v_pk_add_f16 v40, v30, v28
	v_mul_f16_sdwa v55, v54, s19 dst_sel:DWORD dst_unused:UNUSED_PAD src0_sel:WORD_1 src1_sel:DWORD
	v_pk_add_f16 v69, v24, v26 neg_lo:[0,1] neg_hi:[0,1]
	v_fma_f16 v61, v40, s5, -v55
	s_mov_b32 s29, 0x3abb36a6
	v_pk_add_f16 v68, v26, v24
	v_mul_f16_sdwa v70, v69, s22 dst_sel:DWORD dst_unused:UNUSED_PAD src0_sel:WORD_1 src1_sel:DWORD
	v_add_f16_e32 v61, v10, v61
	v_pk_mul_f16 v62, v40, s29
	s_mov_b32 s28, 0xbb47b853
	v_fma_f16 v71, v68, s4, -v70
	s_mov_b32 s30, 0x36a6b93d
	s_mov_b32 s18, 0xffff
	v_pk_fma_f16 v63, v54, s28, v62 op_sel:[0,0,1] op_sel_hi:[1,1,0] neg_lo:[1,0,0] neg_hi:[1,0,0]
	v_pk_fma_f16 v62, v54, s28, v62 op_sel:[0,0,1] op_sel_hi:[1,1,0]
	v_add_f16_e32 v61, v71, v61
	v_pk_mul_f16 v71, v68, s30
	s_mov_b32 s31, 0xba0cbb47
	v_bfi_b32 v64, s18, v62, v63
	v_pk_fma_f16 v72, v69, s31, v71 op_sel:[0,0,1] op_sel_hi:[1,1,0] neg_lo:[1,0,0] neg_hi:[1,0,0]
	v_pk_fma_f16 v71, v69, s31, v71 op_sel:[0,0,1] op_sel_hi:[1,1,0]
	v_pk_add_f16 v64, v10, v64 op_sel:[1,0] op_sel_hi:[0,1]
	v_lshrrev_b32_e32 v65, 16, v40
	v_mul_f16_e32 v66, 0xbb47, v54
	v_bfi_b32 v73, s18, v71, v72
	v_fma_f16 v67, v65, s4, v66
	v_pk_add_f16 v64, v73, v64
	v_lshrrev_b32_e32 v73, 16, v68
	v_mul_f16_e32 v74, 0xba0c, v69
	v_add_f16_sdwa v67, v10, v67 dst_sel:DWORD dst_unused:UNUSED_PAD src0_sel:WORD_1 src1_sel:DWORD
	v_fma_f16 v75, v73, s12, v74
	v_pk_add_f16 v76, v20, v22 neg_lo:[0,1] neg_hi:[0,1]
	v_add_f16_e32 v67, v75, v67
	v_pk_add_f16 v75, v22, v20
	v_mul_f16_sdwa v77, v76, s21 dst_sel:DWORD dst_unused:UNUSED_PAD src0_sel:WORD_1 src1_sel:DWORD
	v_fma_f16 v78, v75, s13, -v77
	s_mov_b32 s33, 0xb08ebbad
	v_add_f16_e32 v61, v78, v61
	v_pk_mul_f16 v78, v75, s33
	s_mov_b32 s34, 0x3482bbeb
	v_pk_fma_f16 v79, v76, s34, v78 op_sel:[0,0,1] op_sel_hi:[1,1,0] neg_lo:[1,0,0] neg_hi:[1,0,0]
	v_pk_fma_f16 v78, v76, s34, v78 op_sel:[0,0,1] op_sel_hi:[1,1,0]
	v_bfi_b32 v80, s18, v78, v79
	v_pk_add_f16 v64, v80, v64
	v_lshrrev_b32_e32 v80, 16, v75
	v_mul_f16_e32 v81, 0x3482, v76
	v_fma_f16 v82, v80, s16, v81
	v_pk_add_f16 v83, v16, v18 neg_lo:[0,1] neg_hi:[0,1]
	v_add_f16_e32 v67, v82, v67
	v_pk_add_f16 v82, v18, v16
	v_mul_f16_sdwa v84, v83, s20 dst_sel:DWORD dst_unused:UNUSED_PAD src0_sel:WORD_1 src1_sel:DWORD
	v_fma_f16 v85, v82, s12, -v84
	s_mov_b32 s35, 0xb93db08e
	v_add_f16_e32 v61, v85, v61
	s_mov_b32 s36, 0x3bebba0c
	v_pk_mul_f16 v85, v82, s35
	v_pk_fma_f16 v86, v83, s36, v85 op_sel:[0,0,1] op_sel_hi:[1,1,0] neg_lo:[1,0,0] neg_hi:[1,0,0]
	v_pk_fma_f16 v85, v83, s36, v85 op_sel:[0,0,1] op_sel_hi:[1,1,0]
	v_bfi_b32 v87, s18, v85, v86
	v_pk_add_f16 v64, v87, v64
	v_lshrrev_b32_e32 v87, 16, v82
	v_mul_f16_e32 v88, 0x3beb, v83
	v_fma_f16 v89, v87, s13, v88
	s_mov_b32 s27, 0xb482
	v_pk_add_f16 v90, v12, v14 neg_lo:[0,1] neg_hi:[0,1]
	v_add_f16_e32 v67, v89, v67
	v_pk_add_f16 v89, v14, v12
	v_mul_f16_sdwa v115, v90, s27 dst_sel:DWORD dst_unused:UNUSED_PAD src0_sel:WORD_1 src1_sel:DWORD
	s_mov_b32 s37, 0xbbad3abb
	v_fma_f16 v116, v89, s16, -v115
	s_mov_b32 s26, 0x3853b482
	v_pk_mul_f16 v117, v89, s37
	v_add_f16_e32 v61, v116, v61
	v_pk_fma_f16 v118, v90, s26, v117 op_sel:[0,0,1] op_sel_hi:[1,1,0] neg_lo:[1,0,0] neg_hi:[1,0,0]
	v_pk_fma_f16 v116, v90, s26, v117 op_sel:[0,0,1] op_sel_hi:[1,1,0]
	v_bfi_b32 v116, s18, v116, v118
	v_lshrrev_b32_e32 v119, 16, v89
	v_mul_f16_e32 v120, 0x3853, v90
	v_pk_add_f16 v64, v116, v64
	v_fma_f16 v116, v119, s5, v120
	v_add_f16_e32 v67, v116, v67
	v_alignbit_b32 v67, v67, v64, 16
	v_pack_b32_f16 v61, v61, v64
	v_mul_lo_u16_e32 v64, 11, v92
	v_lshlrev_b32_e32 v116, 2, v64
	s_waitcnt lgkmcnt(0)
	; wave barrier
	ds_write2_b32 v116, v61, v67 offset0:1 offset1:2
	v_mul_f16_sdwa v61, v54, s21 dst_sel:DWORD dst_unused:UNUSED_PAD src0_sel:WORD_1 src1_sel:DWORD
	v_fma_f16 v64, v40, s13, -v61
	v_mul_f16_sdwa v67, v69, s25 dst_sel:DWORD dst_unused:UNUSED_PAD src0_sel:WORD_1 src1_sel:DWORD
	v_add_f16_e32 v64, v10, v64
	v_fma_f16 v121, v68, s16, -v67
	v_add_f16_e32 v64, v121, v64
	v_mul_f16_e32 v121, 0xbbeb, v54
	v_fma_f16 v122, v65, s13, v121
	v_mul_f16_e32 v123, 0x3482, v69
	v_add_f16_sdwa v122, v10, v122 dst_sel:DWORD dst_unused:UNUSED_PAD src0_sel:WORD_1 src1_sel:DWORD
	v_fma_f16 v124, v73, s16, v123
	v_add_f16_e32 v122, v124, v122
	v_mul_f16_sdwa v124, v54, s20 dst_sel:DWORD dst_unused:UNUSED_PAD src0_sel:WORD_1 src1_sel:DWORD
	v_fma_f16 v125, v40, s12, -v124
	v_mul_f16_sdwa v126, v69, s23 dst_sel:DWORD dst_unused:UNUSED_PAD src0_sel:WORD_1 src1_sel:DWORD
	v_add_f16_e32 v125, v10, v125
	v_fma_f16 v127, v68, s13, -v126
	v_add_f16_e32 v125, v127, v125
	v_mul_f16_e32 v127, 0xba0c, v54
	v_fma_f16 v128, v65, s12, v127
	v_mul_f16_e32 v129, 0x3beb, v69
	v_add_f16_sdwa v128, v10, v128 dst_sel:DWORD dst_unused:UNUSED_PAD src0_sel:WORD_1 src1_sel:DWORD
	v_fma_f16 v130, v73, s13, v129
	v_add_f16_e32 v128, v130, v128
	v_mul_f16_sdwa v130, v76, s17 dst_sel:DWORD dst_unused:UNUSED_PAD src0_sel:WORD_1 src1_sel:DWORD
	v_fma_f16 v131, v75, s4, -v130
	v_add_f16_e32 v64, v131, v64
	v_mul_f16_e32 v131, 0x3b47, v76
	v_fma_f16 v132, v80, s4, v131
	v_add_f16_e32 v122, v132, v122
	v_mul_f16_sdwa v132, v76, s19 dst_sel:DWORD dst_unused:UNUSED_PAD src0_sel:WORD_1 src1_sel:DWORD
	v_fma_f16 v133, v75, s5, -v132
	v_add_f16_e32 v125, v133, v125
	v_mul_f16_e32 v133, 0xb853, v76
	v_fma_f16 v134, v80, s5, v133
	v_add_f16_e32 v128, v134, v128
	v_mul_f16_sdwa v134, v83, s19 dst_sel:DWORD dst_unused:UNUSED_PAD src0_sel:WORD_1 src1_sel:DWORD
	v_fma_f16 v135, v82, s5, -v134
	v_add_f16_e32 v64, v135, v64
	v_mul_f16_e32 v135, 0xb853, v83
	v_fma_f16 v136, v87, s5, v135
	v_add_f16_e32 v122, v136, v122
	v_mul_f16_sdwa v136, v83, s27 dst_sel:DWORD dst_unused:UNUSED_PAD src0_sel:WORD_1 src1_sel:DWORD
	v_fma_f16 v137, v82, s16, -v136
	v_add_f16_e32 v125, v137, v125
	v_mul_f16_e32 v137, 0xb482, v83
	v_fma_f16 v138, v87, s16, v137
	v_add_f16_e32 v128, v138, v128
	v_mul_f16_sdwa v138, v90, s20 dst_sel:DWORD dst_unused:UNUSED_PAD src0_sel:WORD_1 src1_sel:DWORD
	v_fma_f16 v139, v89, s12, -v138
	v_add_f16_e32 v64, v139, v64
	v_mul_f16_e32 v139, 0xb93d, v119
	v_fma_f16 v140, v90, s20, v139
	v_add_f16_e32 v122, v140, v122
	v_mul_f16_sdwa v140, v90, s17 dst_sel:DWORD dst_unused:UNUSED_PAD src0_sel:WORD_1 src1_sel:DWORD
	v_fma_f16 v141, v89, s4, -v140
	v_add_f16_e32 v125, v141, v125
	v_mul_f16_e32 v141, 0x3b47, v90
	v_fma_f16 v142, v119, s4, v141
	v_add_f16_e32 v128, v142, v128
	v_pack_b32_f16 v125, v125, v128
	v_pack_b32_f16 v64, v64, v122
	v_fma_f16 v55, v40, s5, v55
	v_fma_f16 v61, v40, s13, v61
	ds_write2_b32 v116, v64, v125 offset0:3 offset1:4
	v_fma_f16 v64, v65, s4, -v66
	v_fma_f16 v66, v65, s13, -v121
	v_add_f16_e32 v55, v10, v55
	v_fma_f16 v70, v68, s4, v70
	v_alignbit_b32 v62, s0, v62, 16
	v_add_f16_e32 v61, v10, v61
	v_fma_f16 v67, v68, s16, v67
	v_add_f16_e32 v55, v70, v55
	v_pk_add_f16 v62, v10, v62
	v_alignbit_b32 v70, s0, v71, 16
	v_add_f16_e32 v61, v67, v61
	v_add_f16_sdwa v66, v10, v66 dst_sel:DWORD dst_unused:UNUSED_PAD src0_sel:WORD_1 src1_sel:DWORD
	v_fma_f16 v67, v73, s16, -v123
	v_pk_add_f16 v62, v70, v62
	v_add_f16_sdwa v64, v10, v64 dst_sel:DWORD dst_unused:UNUSED_PAD src0_sel:WORD_1 src1_sel:DWORD
	v_fma_f16 v70, v73, s12, -v74
	v_add_f16_e32 v66, v67, v66
	v_fma_f16 v67, v40, s12, v124
	v_fma_f16 v65, v65, s12, -v127
	v_add_f16_e32 v64, v70, v64
	v_add_f16_e32 v67, v10, v67
	v_fma_f16 v70, v68, s13, v126
	v_add_f16_e32 v67, v70, v67
	v_fma_f16 v70, v73, s13, -v129
	v_add_f16_sdwa v65, v10, v65 dst_sel:DWORD dst_unused:UNUSED_PAD src0_sel:WORD_1 src1_sel:DWORD
	v_add_f16_e32 v65, v70, v65
	v_fma_f16 v70, v75, s13, v77
	v_add_f16_e32 v55, v70, v55
	v_alignbit_b32 v70, s0, v78, 16
	v_pk_add_f16 v62, v70, v62
	v_fma_f16 v70, v80, s16, -v81
	v_add_f16_e32 v64, v70, v64
	v_fma_f16 v70, v75, s4, v130
	v_add_f16_e32 v61, v70, v61
	v_fma_f16 v70, v80, s4, -v131
	v_add_f16_e32 v66, v70, v66
	v_fma_f16 v70, v75, s5, v132
	v_add_f16_e32 v67, v70, v67
	v_fma_f16 v70, v80, s5, -v133
	v_add_f16_e32 v65, v70, v65
	v_fma_f16 v70, v82, s12, v84
	v_fma_f16 v71, v87, s16, -v137
	v_add_f16_e32 v55, v70, v55
	v_fma_f16 v70, v87, s13, -v88
	v_add_f16_e32 v65, v71, v65
	v_fma_f16 v71, v89, s16, v115
	v_add_f16_e32 v64, v70, v64
	v_fma_f16 v70, v82, s5, v134
	v_add_f16_e32 v55, v71, v55
	v_fma_f16 v71, v119, s5, -v120
	v_add_f16_e32 v61, v70, v61
	v_fma_f16 v70, v82, s16, v136
	v_add_f16_e32 v64, v71, v64
	v_fma_f16 v71, v89, s12, v138
	v_add_f16_e32 v67, v70, v67
	v_add_f16_e32 v61, v71, v61
	v_fma_f16 v71, v89, s4, v140
	v_add_f16_e32 v67, v71, v67
	v_fma_f16 v71, v119, s4, -v141
	v_pk_mul_f16 v40, v40, s16 op_sel_hi:[1,0]
	v_add_f16_e32 v65, v71, v65
	v_pk_fma_f16 v71, v54, s27, v40 op_sel:[0,0,1] op_sel_hi:[1,0,0] neg_lo:[1,0,0] neg_hi:[1,0,0]
	v_pk_fma_f16 v40, v54, s27, v40 op_sel:[0,0,1] op_sel_hi:[1,0,0]
	v_alignbit_b32 v54, s0, v10, 16
	v_pk_add_f16 v54, v54, v71
	v_alignbit_b32 v71, s0, v71, 16
	v_add_f16_sdwa v63, v10, v63 dst_sel:DWORD dst_unused:UNUSED_PAD src0_sel:WORD_1 src1_sel:DWORD
	v_pk_add_f16 v71, v10, v71
	v_pk_add_f16 v40, v10, v40 op_sel:[1,0] op_sel_hi:[0,1]
	v_pk_add_f16 v10, v10, v28
	v_pk_add_f16 v10, v10, v24
	v_pk_mul_f16 v68, v68, s5 op_sel_hi:[1,0]
	v_pk_add_f16 v10, v10, v20
	v_add_f16_e32 v63, v72, v63
	v_pk_fma_f16 v72, v69, s24, v68 op_sel:[0,0,1] op_sel_hi:[1,0,0] neg_lo:[1,0,0] neg_hi:[1,0,0]
	v_pk_fma_f16 v68, v69, s24, v68 op_sel:[0,0,1] op_sel_hi:[1,0,0]
	v_pk_mul_f16 v69, v75, s12 op_sel_hi:[1,0]
	v_pk_add_f16 v10, v10, v16
	v_alignbit_b32 v73, s0, v72, 16
	v_pk_add_f16 v68, v68, v40
	v_pk_add_f16 v54, v72, v54
	v_pk_fma_f16 v72, v76, s20, v69 op_sel:[0,0,1] op_sel_hi:[1,0,0] neg_lo:[1,0,0] neg_hi:[1,0,0]
	v_pk_fma_f16 v69, v76, s20, v69 op_sel:[0,0,1] op_sel_hi:[1,0,0]
	v_pk_add_f16 v10, v10, v12
	v_pk_add_f16 v71, v73, v71
	v_alignbit_b32 v40, s0, v72, 16
	v_pk_add_f16 v28, v69, v68
	v_pk_mul_f16 v68, v82, s4 op_sel_hi:[1,0]
	v_pk_add_f16 v10, v10, v14
	v_pk_add_f16 v71, v40, v71
	v_add_co_u32_e64 v40, s[0:1], 55, v92
	v_pk_fma_f16 v69, v83, s17, v68 op_sel:[0,0,1] op_sel_hi:[1,0,0] neg_lo:[1,0,0] neg_hi:[1,0,0]
	v_pk_add_f16 v10, v10, v18
	v_pk_mul_f16 v18, v89, s13 op_sel_hi:[1,0]
	v_pk_add_f16 v54, v72, v54
	v_alignbit_b32 v72, s0, v69, 16
	v_pk_fma_f16 v12, v83, s17, v68 op_sel:[0,0,1] op_sel_hi:[1,0,0]
	v_pk_fma_f16 v20, v90, s21, v18 op_sel:[0,0,1] op_sel_hi:[1,0,0] neg_lo:[1,0,0] neg_hi:[1,0,0]
	v_pk_add_f16 v71, v72, v71
	v_pk_add_f16 v10, v10, v22
	;; [unrolled: 1-line block ×4, first 2 shown]
	v_alignbit_b32 v22, s0, v20, 16
	v_pk_fma_f16 v18, v90, s21, v18 op_sel:[0,0,1] op_sel_hi:[1,0,0]
	v_pk_add_f16 v22, v22, v71
	v_pk_add_f16 v12, v18, v12
	;; [unrolled: 1-line block ×4, first 2 shown]
	v_alignbit_b32 v16, v16, v12, 16
	v_pack_b32_f16 v12, v22, v12
	v_fma_f16 v70, v87, s5, -v135
	v_pk_add_f16 v10, v10, v30
	v_pk_mul_f16 v14, v90, s26
	ds_write2_b32 v116, v12, v16 offset0:5 offset1:6
	v_pack_b32_f16 v12, v67, v65
	ds_write2_b32 v116, v10, v12 offset1:7
	v_pack_b32_f16 v10, v70, v117
	v_bfi_b32 v12, s18, v66, v14
	v_mul_f16_e32 v24, 0xba0c, v90
	v_pk_add_f16 v10, v10, v12
	v_lshlrev_b32_e32 v12, 16, v62
	v_pk_add_f16 v14, v139, v24 neg_lo:[0,1] neg_hi:[0,1]
	v_pk_add_f16 v12, v85, v12
	v_add_f16_e32 v63, v79, v63
	v_bfi_b32 v12, s18, v14, v12
	v_add_f16_e32 v63, v86, v63
	v_pk_add_f16 v10, v12, v10
	v_add_f16_e32 v63, v118, v63
	v_alignbit_b32 v12, v64, v10, 16
	v_pack_b32_f16 v10, v61, v10
	ds_write2_b32 v116, v10, v12 offset0:8 offset1:9
	v_pack_b32_f16 v10, v55, v63
	v_pk_add_f16 v72, v11, v29
	ds_write_b32 v116, v10 offset:40
	v_mul_u32_u24_e32 v10, 11, v40
	v_lshlrev_b32_e32 v115, 2, v10
	v_pk_add_f16 v10, v72, v25
	v_pk_add_f16 v10, v10, v21
	;; [unrolled: 1-line block ×8, first 2 shown]
	v_pk_add_f16 v14, v29, v31 neg_lo:[0,1] neg_hi:[0,1]
	v_pk_add_f16 v12, v10, v31
	v_pk_add_f16 v10, v31, v29
	v_mul_f16_sdwa v16, v14, s19 dst_sel:DWORD dst_unused:UNUSED_PAD src0_sel:WORD_1 src1_sel:DWORD
	v_pk_add_f16 v54, v27, v25
	v_pk_add_f16 v25, v25, v27 neg_lo:[0,1] neg_hi:[0,1]
	v_fma_f16 v18, v10, s5, -v16
	v_mul_f16_sdwa v55, v25, s22 dst_sel:DWORD dst_unused:UNUSED_PAD src0_sel:WORD_1 src1_sel:DWORD
	v_pk_add_f16 v65, v23, v21
	v_pk_add_f16 v21, v21, v23 neg_lo:[0,1] neg_hi:[0,1]
	v_add_f16_e32 v18, v11, v18
	v_pk_mul_f16 v20, v10, s29
	v_fma_f16 v27, v54, s4, -v55
	v_mul_f16_sdwa v66, v21, s21 dst_sel:DWORD dst_unused:UNUSED_PAD src0_sel:WORD_1 src1_sel:DWORD
	v_pk_add_f16 v71, v19, v17
	v_pk_add_f16 v17, v17, v19 neg_lo:[0,1] neg_hi:[0,1]
	v_pk_fma_f16 v22, v14, s28, v20 op_sel:[0,0,1] op_sel_hi:[1,1,0] neg_lo:[1,0,0] neg_hi:[1,0,0]
	v_pk_fma_f16 v20, v14, s28, v20 op_sel:[0,0,1] op_sel_hi:[1,1,0]
	v_add_f16_e32 v18, v27, v18
	v_pk_mul_f16 v27, v54, s30
	v_fma_f16 v23, v65, s13, -v66
	v_mul_f16_sdwa v72, v17, s20 dst_sel:DWORD dst_unused:UNUSED_PAD src0_sel:WORD_1 src1_sel:DWORD
	v_bfi_b32 v24, s18, v20, v22
	v_lshrrev_b32_e32 v26, 16, v10
	v_mul_f16_e32 v28, 0xbb47, v14
	v_pk_fma_f16 v61, v25, s31, v27 op_sel:[0,0,1] op_sel_hi:[1,1,0] neg_lo:[1,0,0] neg_hi:[1,0,0]
	v_pk_fma_f16 v62, v25, s31, v27 op_sel:[0,0,1] op_sel_hi:[1,1,0]
	v_add_f16_e32 v18, v23, v18
	v_pk_mul_f16 v23, v65, s33
	v_fma_f16 v19, v71, s12, -v72
	v_pk_add_f16 v24, v11, v24 op_sel:[1,0] op_sel_hi:[0,1]
	v_fma_f16 v29, v26, s4, v28
	v_bfi_b32 v27, s18, v62, v61
	v_lshrrev_b32_e32 v63, 16, v54
	v_mul_f16_e32 v64, 0xba0c, v25
	v_pk_fma_f16 v67, v21, s34, v23 op_sel:[0,0,1] op_sel_hi:[1,1,0] neg_lo:[1,0,0] neg_hi:[1,0,0]
	v_pk_fma_f16 v68, v21, s34, v23 op_sel:[0,0,1] op_sel_hi:[1,1,0]
	v_add_f16_e32 v18, v19, v18
	v_pk_mul_f16 v19, v71, s35
	v_add_f16_sdwa v29, v11, v29 dst_sel:DWORD dst_unused:UNUSED_PAD src0_sel:WORD_1 src1_sel:DWORD
	v_pk_add_f16 v24, v27, v24
	v_fma_f16 v27, v63, s12, v64
	v_bfi_b32 v23, s18, v68, v67
	v_lshrrev_b32_e32 v69, 16, v65
	v_mul_f16_e32 v70, 0x3482, v21
	v_pk_fma_f16 v73, v17, s36, v19 op_sel:[0,0,1] op_sel_hi:[1,1,0] neg_lo:[1,0,0] neg_hi:[1,0,0]
	v_pk_fma_f16 v74, v17, s36, v19 op_sel:[0,0,1] op_sel_hi:[1,1,0]
	v_pk_add_f16 v77, v15, v13
	v_pk_add_f16 v78, v13, v15 neg_lo:[0,1] neg_hi:[0,1]
	v_add_f16_e32 v27, v27, v29
	v_pk_add_f16 v23, v23, v24
	v_fma_f16 v24, v69, s16, v70
	v_bfi_b32 v19, s18, v74, v73
	v_lshrrev_b32_e32 v75, 16, v71
	v_mul_f16_e32 v76, 0x3beb, v17
	v_mul_f16_sdwa v79, v78, s27 dst_sel:DWORD dst_unused:UNUSED_PAD src0_sel:WORD_1 src1_sel:DWORD
	v_pk_mul_f16 v80, v77, s37
	v_add_f16_e32 v24, v24, v27
	v_pk_add_f16 v19, v19, v23
	v_fma_f16 v23, v75, s13, v76
	v_fma_f16 v13, v77, s16, -v79
	v_pk_fma_f16 v81, v78, s26, v80 op_sel:[0,0,1] op_sel_hi:[1,1,0] neg_lo:[1,0,0] neg_hi:[1,0,0]
	v_pk_fma_f16 v15, v78, s26, v80 op_sel:[0,0,1] op_sel_hi:[1,1,0]
	v_lshrrev_b32_e32 v82, 16, v77
	v_mul_f16_e32 v83, 0x3853, v78
	v_add_f16_e32 v23, v23, v24
	v_add_f16_e32 v13, v13, v18
	v_bfi_b32 v15, s18, v15, v81
	v_fma_f16 v18, v82, s5, v83
	v_mul_f16_sdwa v30, v14, s21 dst_sel:DWORD dst_unused:UNUSED_PAD src0_sel:WORD_1 src1_sel:DWORD
	v_pk_add_f16 v15, v15, v19
	v_add_f16_e32 v18, v18, v23
	v_fma_f16 v19, v10, s13, -v30
	v_alignbit_b32 v18, v18, v15, 16
	v_pack_b32_f16 v13, v13, v15
	v_mul_f16_e32 v15, 0xbbeb, v14
	v_mul_f16_sdwa v84, v25, s25 dst_sel:DWORD dst_unused:UNUSED_PAD src0_sel:WORD_1 src1_sel:DWORD
	v_add_f16_e32 v19, v11, v19
	ds_write2_b32 v115, v13, v18 offset0:1 offset1:2
	v_fma_f16 v13, v54, s16, -v84
	v_fma_f16 v18, v26, s13, v15
	v_mul_f16_e32 v85, 0x3482, v25
	v_add_f16_e32 v13, v13, v19
	v_add_f16_sdwa v18, v11, v18 dst_sel:DWORD dst_unused:UNUSED_PAD src0_sel:WORD_1 src1_sel:DWORD
	v_fma_f16 v19, v63, s16, v85
	v_add_f16_e32 v18, v19, v18
	v_mul_f16_sdwa v19, v14, s20 dst_sel:DWORD dst_unused:UNUSED_PAD src0_sel:WORD_1 src1_sel:DWORD
	v_fma_f16 v23, v10, s12, -v19
	v_mul_f16_sdwa v24, v25, s23 dst_sel:DWORD dst_unused:UNUSED_PAD src0_sel:WORD_1 src1_sel:DWORD
	v_add_f16_e32 v23, v11, v23
	v_fma_f16 v27, v54, s13, -v24
	v_add_f16_e32 v23, v27, v23
	v_mul_f16_e32 v27, 0xba0c, v14
	v_fma_f16 v29, v26, s12, v27
	v_mul_f16_e32 v31, 0x3beb, v25
	v_add_f16_sdwa v29, v11, v29 dst_sel:DWORD dst_unused:UNUSED_PAD src0_sel:WORD_1 src1_sel:DWORD
	v_fma_f16 v86, v63, s13, v31
	v_add_f16_e32 v29, v86, v29
	v_mul_f16_sdwa v86, v21, s17 dst_sel:DWORD dst_unused:UNUSED_PAD src0_sel:WORD_1 src1_sel:DWORD
	v_fma_f16 v87, v65, s4, -v86
	v_add_f16_e32 v13, v87, v13
	v_mul_f16_e32 v87, 0x3b47, v21
	v_fma_f16 v88, v69, s4, v87
	v_add_f16_e32 v18, v88, v18
	v_mul_f16_sdwa v88, v21, s19 dst_sel:DWORD dst_unused:UNUSED_PAD src0_sel:WORD_1 src1_sel:DWORD
	v_fma_f16 v89, v65, s5, -v88
	v_add_f16_e32 v23, v89, v23
	v_mul_f16_e32 v89, 0xb853, v21
	;; [unrolled: 6-line block ×4, first 2 shown]
	v_fma_f16 v120, v75, s16, v119
	v_mul_f16_sdwa v127, v78, s20 dst_sel:DWORD dst_unused:UNUSED_PAD src0_sel:WORD_1 src1_sel:DWORD
	v_add_f16_e32 v29, v120, v29
	v_fma_f16 v120, v77, s12, -v127
	v_mul_f16_e32 v128, 0xb93d, v82
	v_add_f16_e32 v13, v120, v13
	v_fma_f16 v120, v78, s20, v128
	v_add_f16_e32 v18, v120, v18
	v_mul_f16_sdwa v120, v78, s17 dst_sel:DWORD dst_unused:UNUSED_PAD src0_sel:WORD_1 src1_sel:DWORD
	v_fma_f16 v121, v77, s4, -v120
	v_add_f16_e32 v23, v121, v23
	v_mul_f16_e32 v121, 0x3b47, v78
	v_fma_f16 v122, v82, s4, v121
	v_add_f16_e32 v29, v122, v29
	v_pack_b32_f16 v23, v23, v29
	v_pack_b32_f16 v13, v13, v18
	ds_write2_b32 v115, v13, v23 offset0:3 offset1:4
	v_fma_f16 v16, v10, s5, v16
	v_fma_f16 v23, v10, s13, v30
	v_fma_f16 v19, v10, s12, v19
	v_pk_mul_f16 v10, v10, s16 op_sel_hi:[1,0]
	v_fma_f16 v13, v26, s4, -v28
	v_fma_f16 v15, v26, s13, -v15
	;; [unrolled: 1-line block ×3, first 2 shown]
	v_pk_fma_f16 v26, v14, s27, v10 op_sel:[0,0,1] op_sel_hi:[1,0,0] neg_lo:[1,0,0] neg_hi:[1,0,0]
	v_pk_fma_f16 v10, v14, s27, v10 op_sel:[0,0,1] op_sel_hi:[1,0,0]
	v_add_f16_e32 v129, v11, v16
	v_alignbit_b32 v14, s0, v20, 16
	v_add_f16_sdwa v133, v11, v15 dst_sel:DWORD dst_unused:UNUSED_PAD src0_sel:WORD_1 src1_sel:DWORD
	v_alignbit_b32 v15, s0, v26, 16
	v_pk_mul_f16 v16, v54, s5 op_sel_hi:[1,0]
	v_pk_add_f16 v130, v11, v14
	v_add_f16_sdwa v131, v11, v13 dst_sel:DWORD dst_unused:UNUSED_PAD src0_sel:WORD_1 src1_sel:DWORD
	v_add_f16_e32 v132, v11, v23
	v_add_f16_e32 v13, v11, v19
	v_add_f16_sdwa v14, v11, v18 dst_sel:DWORD dst_unused:UNUSED_PAD src0_sel:WORD_1 src1_sel:DWORD
	v_add_f16_sdwa v134, v11, v22 dst_sel:DWORD dst_unused:UNUSED_PAD src0_sel:WORD_1 src1_sel:DWORD
	v_pk_add_f16 v15, v11, v15
	v_pk_add_f16 v10, v11, v10 op_sel:[1,0] op_sel_hi:[0,1]
	v_alignbit_b32 v11, s0, v11, 16
	v_pk_fma_f16 v18, v25, s24, v16 op_sel:[0,0,1] op_sel_hi:[1,0,0] neg_lo:[1,0,0] neg_hi:[1,0,0]
	v_pk_fma_f16 v16, v25, s24, v16 op_sel:[0,0,1] op_sel_hi:[1,0,0]
	v_pk_add_f16 v11, v11, v26
	v_pk_add_f16 v10, v16, v10
	v_pk_mul_f16 v16, v65, s12 op_sel_hi:[1,0]
	v_alignbit_b32 v19, s0, v18, 16
	v_pk_add_f16 v11, v18, v11
	v_pk_fma_f16 v18, v21, s20, v16 op_sel:[0,0,1] op_sel_hi:[1,0,0] neg_lo:[1,0,0] neg_hi:[1,0,0]
	v_pk_fma_f16 v16, v21, s20, v16 op_sel:[0,0,1] op_sel_hi:[1,0,0]
	v_pk_add_f16 v10, v16, v10
	v_pk_mul_f16 v16, v71, s4 op_sel_hi:[1,0]
	v_pk_add_f16 v15, v19, v15
	v_alignbit_b32 v19, s0, v18, 16
	v_pk_add_f16 v11, v18, v11
	v_pk_fma_f16 v18, v17, s17, v16 op_sel:[0,0,1] op_sel_hi:[1,0,0] neg_lo:[1,0,0] neg_hi:[1,0,0]
	v_pk_fma_f16 v16, v17, s17, v16 op_sel:[0,0,1] op_sel_hi:[1,0,0]
	v_pk_add_f16 v10, v16, v10
	v_pk_mul_f16 v16, v77, s13 op_sel_hi:[1,0]
	v_pk_add_f16 v15, v19, v15
	v_alignbit_b32 v19, s0, v18, 16
	v_pk_fma_f16 v17, v78, s21, v16 op_sel:[0,0,1] op_sel_hi:[1,0,0] neg_lo:[1,0,0] neg_hi:[1,0,0]
	v_pk_add_f16 v15, v19, v15
	v_pk_add_f16 v11, v18, v11
	v_alignbit_b32 v18, s0, v17, 16
	v_pk_fma_f16 v16, v78, s21, v16 op_sel:[0,0,1] op_sel_hi:[1,0,0]
	v_pk_add_f16 v15, v18, v15
	v_pk_add_f16 v10, v16, v10
	;; [unrolled: 1-line block ×3, first 2 shown]
	v_alignbit_b32 v11, v11, v10, 16
	v_pack_b32_f16 v10, v15, v10
	ds_write2_b32 v115, v10, v11 offset0:5 offset1:6
	v_fma_f16 v10, v54, s13, v24
	v_add_f16_e32 v10, v10, v13
	v_fma_f16 v11, v63, s13, -v31
	v_fma_f16 v13, v65, s5, v88
	v_add_f16_e32 v11, v11, v14
	v_add_f16_e32 v10, v13, v10
	v_fma_f16 v13, v69, s5, -v89
	v_add_f16_e32 v11, v13, v11
	v_fma_f16 v13, v71, s16, v118
	v_add_f16_e32 v10, v13, v10
	v_fma_f16 v13, v75, s16, -v119
	v_add_f16_e32 v11, v13, v11
	v_fma_f16 v13, v77, s4, v120
	v_add_f16_e32 v13, v13, v10
	v_fma_f16 v10, v82, s4, -v121
	v_add_f16_e32 v11, v10, v11
	v_mul_f16_sdwa v10, v44, s19 dst_sel:DWORD dst_unused:UNUSED_PAD src0_sel:WORD_1 src1_sel:DWORD
	v_pack_b32_f16 v11, v13, v11
	v_fma_f16 v13, v34, s5, v10
	ds_write2_b32 v115, v12, v11 offset1:7
	v_mul_f16_sdwa v11, v49, s22 dst_sel:DWORD dst_unused:UNUSED_PAD src0_sel:WORD_1 src1_sel:DWORD
	v_fma_f16 v12, v37, s4, v11
	v_add_f16_e32 v13, v13, v0
	v_add_f16_e32 v19, v12, v13
	v_lshrrev_b32_e32 v14, 16, v34
	v_mul_f16_e32 v12, 0xbb47, v44
	v_fma_f16 v13, v14, s4, -v12
	v_add_f16_sdwa v16, v13, v0 dst_sel:DWORD dst_unused:UNUSED_PAD src0_sel:DWORD src1_sel:WORD_1
	v_lshrrev_b32_e32 v15, 16, v37
	v_mul_f16_e32 v13, 0xba0c, v49
	v_fma_f16 v17, v15, s12, -v13
	v_add_f16_e32 v20, v17, v16
	v_fma_f16 v16, v34, s13, -v51
	v_fma_f16 v17, v37, s16, -v53
	v_add_f16_e32 v16, v16, v0
	v_add_f16_e32 v21, v17, v16
	v_mul_f16_e32 v16, 0xbbeb, v44
	v_fma_f16 v17, v14, s13, v16
	v_mul_f16_e32 v18, 0x3482, v49
	v_add_f16_sdwa v17, v17, v0 dst_sel:DWORD dst_unused:UNUSED_PAD src0_sel:DWORD src1_sel:WORD_1
	v_fma_f16 v22, v15, s16, v18
	v_fma_f16 v16, v14, s13, -v16
	v_add_f16_e32 v23, v22, v17
	v_fma_f16 v17, v15, s16, -v18
	v_add_f16_sdwa v16, v16, v0 dst_sel:DWORD dst_unused:UNUSED_PAD src0_sel:DWORD src1_sel:WORD_1
	v_add_f16_e32 v24, v17, v16
	v_mul_f16_sdwa v16, v44, s20 dst_sel:DWORD dst_unused:UNUSED_PAD src0_sel:WORD_1 src1_sel:DWORD
	v_fma_f16 v17, v34, s12, -v16
	v_mul_f16_sdwa v18, v49, s23 dst_sel:DWORD dst_unused:UNUSED_PAD src0_sel:WORD_1 src1_sel:DWORD
	v_add_f16_e32 v17, v17, v0
	v_fma_f16 v22, v37, s13, -v18
	v_fma_f16 v16, v34, s12, v16
	v_add_f16_e32 v25, v22, v17
	v_mul_f16_e32 v17, 0xba0c, v44
	v_fma_f16 v18, v37, s13, v18
	v_add_f16_e32 v16, v16, v0
	v_mul_f16_e32 v26, 0x3beb, v49
	v_add_f16_e32 v28, v18, v16
	v_fma_f16 v16, v14, s12, -v17
	v_fma_f16 v22, v14, s12, v17
	v_fma_f16 v17, v15, s13, -v26
	v_add_f16_sdwa v16, v16, v0 dst_sel:DWORD dst_unused:UNUSED_PAD src0_sel:DWORD src1_sel:WORD_1
	s_mov_b32 s0, 0xb482b853
	v_fma_f16 v27, v15, s13, v26
	v_add_f16_e32 v26, v17, v16
	s_mov_b32 s22, 0x3abbbbad
	v_pk_mul_f16 v17, v44, s0
	s_mov_b32 s1, 0x3853bb47
	v_add_f16_sdwa v22, v22, v0 dst_sel:DWORD dst_unused:UNUSED_PAD src0_sel:DWORD src1_sel:WORD_1
	v_pk_fma_f16 v16, v34, s22, v17 op_sel:[0,0,1] op_sel_hi:[1,1,0] neg_lo:[0,0,1] neg_hi:[0,0,1]
	s_mov_b32 s0, 0x36a63abb
	v_pk_mul_f16 v18, v49, s1
	v_add_f16_e32 v27, v27, v22
	v_pk_add_f16 v16, v16, v0
	v_pk_fma_f16 v22, v37, s0, v18 op_sel:[0,0,1] op_sel_hi:[1,1,0] neg_lo:[0,0,1] neg_hi:[0,0,1]
	v_mul_f16_e32 v30, 0xb482, v44
	v_pk_add_f16 v29, v22, v16
	v_mul_f16_e32 v31, 0x3853, v49
	v_fma_f16 v16, v14, s16, -v30
	v_add_f16_sdwa v16, v16, v0 dst_sel:DWORD dst_unused:UNUSED_PAD src0_sel:DWORD src1_sel:WORD_1
	v_fma_f16 v22, v15, s5, -v31
	v_add_f16_e32 v44, v22, v16
	v_mul_f16_sdwa v16, v48, s21 dst_sel:DWORD dst_unused:UNUSED_PAD src0_sel:WORD_1 src1_sel:DWORD
	v_fma_f16 v22, v39, s13, v16
	v_add_f16_e32 v49, v22, v19
	v_lshrrev_b32_e32 v22, 16, v39
	v_mul_f16_e32 v19, 0x3482, v48
	v_fma_f16 v51, v22, s16, -v19
	v_add_f16_e32 v51, v51, v20
	v_fma_f16 v20, v39, s4, -v52
	v_add_f16_e32 v21, v20, v21
	v_mul_f16_e32 v20, 0x3b47, v48
	v_fma_f16 v52, v22, s4, v20
	v_fma_f16 v20, v22, s4, -v20
	v_add_f16_e32 v53, v20, v24
	v_mul_f16_sdwa v20, v48, s19 dst_sel:DWORD dst_unused:UNUSED_PAD src0_sel:WORD_1 src1_sel:DWORD
	v_add_f16_e32 v52, v52, v23
	v_fma_f16 v23, v39, s5, -v20
	v_add_f16_e32 v88, v23, v25
	v_mul_f16_e32 v23, 0xb853, v48
	v_fma_f16 v20, v39, s5, v20
	s_mov_b32 s19, 0xba0cbbeb
	v_fma_f16 v24, v22, s5, v23
	v_add_f16_e32 v28, v20, v28
	v_fma_f16 v20, v22, s5, -v23
	s_mov_b32 s1, 0xb08eb93d
	v_pk_mul_f16 v23, v48, s19
	v_add_f16_e32 v26, v20, v26
	v_pk_fma_f16 v20, v39, s1, v23 op_sel:[0,0,1] op_sel_hi:[1,1,0] neg_lo:[0,0,1] neg_hi:[0,0,1]
	v_mul_f16_e32 v89, 0xba0c, v48
	v_pk_add_f16 v29, v20, v29
	v_fma_f16 v20, v22, s12, -v89
	v_add_f16_e32 v44, v20, v44
	v_mul_f16_sdwa v20, v47, s20 dst_sel:DWORD dst_unused:UNUSED_PAD src0_sel:WORD_1 src1_sel:DWORD
	v_add_f16_e32 v27, v24, v27
	v_fma_f16 v24, v42, s12, v20
	v_add_f16_e32 v48, v24, v49
	v_lshrrev_b32_e32 v25, 16, v42
	v_mul_f16_e32 v24, 0x3beb, v47
	v_fma_f16 v50, v42, s5, -v50
	v_fma_f16 v49, v25, s13, -v24
	v_add_f16_e32 v50, v50, v21
	v_mul_f16_e32 v21, 0xb853, v47
	v_add_f16_e32 v49, v49, v51
	v_fma_f16 v51, v25, s5, v21
	v_fma_f16 v21, v25, s5, -v21
	v_add_f16_e32 v51, v51, v52
	v_add_f16_e32 v52, v21, v53
	v_mul_f16_sdwa v21, v47, s27 dst_sel:DWORD dst_unused:UNUSED_PAD src0_sel:WORD_1 src1_sel:DWORD
	v_fma_f16 v53, v42, s16, -v21
	v_add_f16_e32 v53, v53, v88
	v_mul_f16_e32 v88, 0xb482, v47
	v_fma_f16 v21, v42, s16, v21
	s_mov_b32 s19, 0x3b47ba0c
	v_add_f16_e32 v135, v21, v28
	v_fma_f16 v21, v25, s16, -v88
	s_mov_b32 s20, 0xb93d36a6
	v_pk_mul_f16 v28, v47, s19
	v_fma_f16 v118, v25, s16, v88
	v_add_f16_e32 v88, v21, v26
	v_pk_fma_f16 v21, v42, s20, v28 op_sel:[0,0,1] op_sel_hi:[1,1,0] neg_lo:[0,0,1] neg_hi:[0,0,1]
	v_mul_f16_e32 v125, 0x3b47, v47
	v_pk_add_f16 v29, v21, v29
	v_fma_f16 v21, v25, s4, -v125
	v_add_f16_e32 v44, v21, v44
	v_mul_f16_sdwa v21, v45, s27 dst_sel:DWORD dst_unused:UNUSED_PAD src0_sel:WORD_1 src1_sel:DWORD
	v_fma_f16 v26, v43, s16, v21
	v_add_f16_e32 v121, v26, v48
	v_lshrrev_b32_e32 v47, 16, v43
	v_mul_f16_e32 v26, 0x3853, v45
	v_fma_f16 v48, v47, s5, -v26
	v_add_f16_e32 v120, v48, v49
	v_mul_f16_e32 v48, 0xba0c, v45
	v_fma_f16 v49, v47, s12, v48
	v_fma_f16 v48, v47, s12, -v48
	v_add_f16_e32 v122, v48, v52
	v_mul_f16_e32 v48, 0x3b47, v45
	v_add_f16_e32 v27, v118, v27
	v_add_f16_e32 v118, v49, v51
	v_fma_f16 v49, v47, s4, v48
	s_mov_b32 s19, 0xbbebb482
	v_add_f16_e32 v119, v49, v27
	v_fma_f16 v27, v47, s4, -v48
	s_mov_b32 s21, 0xbbadb08e
	v_pk_mul_f16 v48, v45, s19
	v_add_f16_e32 v123, v27, v88
	v_pk_fma_f16 v27, v43, s21, v48 op_sel:[0,0,1] op_sel_hi:[1,1,0] neg_lo:[0,0,1] neg_hi:[0,0,1]
	v_pk_add_f16 v124, v27, v29
	v_pk_fma_f16 v27, v34, s22, v17 op_sel:[0,0,1] op_sel_hi:[1,1,0]
	s_mov_b32 s19, 0x5040100
	v_mul_f16_e32 v29, 0x3abb, v15
	v_pack_b32_f16 v27, v31, v27
	v_perm_b32 v29, v0, v29, s19
	v_pk_add_f16 v27, v27, v29
	v_fma_f16 v30, v14, s16, v30
	v_pk_mul_f16 v29, v37, s0
	s_mov_b32 s0, 0x7060302
	v_pack_b32_f16 v30, v30, v29
	v_perm_b32 v31, v18, v0, s0
	v_pk_add_f16 v30, v30, v31
	v_pk_add_f16 v27, v30, v27
	v_pk_mul_f16 v30, v39, s1
	v_mul_f16_e32 v49, 0xb93d, v22
	v_pack_b32_f16 v31, v89, v30
	v_bfi_b32 v49, s18, v49, v23
	v_pk_add_f16 v31, v31, v49
	v_pk_add_f16 v27, v31, v27
	v_pk_mul_f16 v31, v42, s20
	v_mul_f16_e32 v51, 0x36a6, v25
	v_pack_b32_f16 v49, v125, v31
	v_bfi_b32 v51, s18, v51, v28
	v_pk_add_f16 v49, v49, v51
	v_pk_add_f16 v49, v49, v27
	v_mul_f16_e32 v27, 0xb08e, v47
	v_bfi_b32 v51, s18, v27, v48
	v_pk_mul_f16 v27, v43, s21
	v_mul_f16_e32 v52, 0xbbeb, v45
	v_pack_b32_f16 v88, v52, v27
	v_pk_add_f16 v51, v88, v51
	v_pk_add_f16 v125, v51, v49
	v_fma_f16 v49, v47, s13, -v52
	v_add_f16_e32 v126, v49, v44
	v_fma_f16 v44, v54, s4, v55
	v_add_f16_e32 v44, v44, v129
	v_alignbit_b32 v49, s0, v62, 16
	v_fma_f16 v55, v65, s13, v66
	v_pk_add_f16 v49, v49, v130
	v_fma_f16 v51, v63, s12, -v64
	v_add_f16_e32 v44, v55, v44
	v_alignbit_b32 v55, s0, v68, 16
	v_add_f16_e32 v51, v51, v131
	v_fma_f16 v52, v54, s16, v84
	v_pk_add_f16 v49, v55, v49
	v_fma_f16 v55, v69, s16, -v70
	v_add_f16_e32 v52, v52, v132
	v_fma_f16 v54, v63, s16, -v85
	v_add_f16_e32 v51, v55, v51
	v_fma_f16 v55, v65, s4, v86
	v_add_f16_e32 v54, v54, v133
	v_add_f16_e32 v52, v55, v52
	v_fma_f16 v55, v69, s4, -v87
	v_add_f16_e32 v54, v55, v54
	v_fma_f16 v55, v71, s12, v72
	v_add_f16_e32 v44, v55, v44
	v_fma_f16 v55, v75, s13, -v76
	v_fma_f16 v62, v77, s16, v79
	v_mul_f16_sdwa v45, v45, s17 dst_sel:DWORD dst_unused:UNUSED_PAD src0_sel:WORD_1 src1_sel:DWORD
	v_add_f16_e32 v51, v55, v51
	v_fma_f16 v55, v71, s5, v90
	v_add_f16_e32 v64, v62, v44
	v_fma_f16 v62, v82, s5, -v83
	v_fma_f16 v46, v43, s12, -v46
	;; [unrolled: 1-line block ×3, first 2 shown]
	v_fma_f16 v45, v43, s4, v45
	v_add_f16_e32 v52, v55, v52
	v_fma_f16 v55, v75, s5, -v117
	v_add_f16_e32 v51, v62, v51
	v_add_f16_e32 v62, v46, v50
	;; [unrolled: 1-line block ×3, first 2 shown]
	v_fma_f16 v45, v77, s12, v127
	v_pk_mul_f16 v46, v78, s26
	v_mul_f16_e32 v50, 0xba0c, v78
	v_lshlrev_b32_e32 v49, 16, v49
	v_add_f16_e32 v44, v61, v134
	v_add_f16_e32 v45, v45, v52
	v_pack_b32_f16 v52, v55, v80
	v_bfi_b32 v46, s18, v54, v46
	v_pk_add_f16 v50, v128, v50 neg_lo:[0,1] neg_hi:[0,1]
	v_pk_add_f16 v49, v74, v49
	v_add_f16_e32 v44, v67, v44
	v_pk_add_f16 v46, v52, v46
	v_bfi_b32 v49, s18, v50, v49
	v_add_f16_e32 v44, v73, v44
	s_movk_i32 s0, 0x6e
	v_pk_add_f16 v46, v49, v46
	v_add_f16_e32 v61, v81, v44
	v_add_co_u32_e64 v44, s[0:1], s0, v92
	v_alignbit_b32 v49, v51, v46, 16
	v_pack_b32_f16 v45, v45, v46
	v_add_f16_e32 v63, v63, v53
	ds_write2_b32 v115, v45, v49 offset0:8 offset1:9
	v_pack_b32_f16 v45, v64, v61
	v_mul_u32_u24_e32 v117, 11, v44
	ds_write_b32 v115, v45 offset:40
	s_and_saveexec_b64 s[0:1], vcc
	s_cbranch_execz .LBB0_7
; %bb.6:
	v_mul_f16_e32 v14, 0x36a6, v14
	v_mul_f16_e32 v15, 0xb93d, v15
	v_add_f16_e32 v12, v12, v14
	v_mul_f16_e32 v22, 0xbbad, v22
	v_add_f16_sdwa v12, v12, v0 dst_sel:DWORD dst_unused:UNUSED_PAD src0_sel:DWORD src1_sel:WORD_1
	v_add_f16_e32 v13, v13, v15
	v_mul_f16_e32 v25, 0xb08e, v25
	v_add_f16_e32 v12, v13, v12
	v_add_f16_e32 v13, v19, v22
	v_mul_f16_e32 v47, 0x3abb, v47
	v_add_f16_e32 v12, v13, v12
	;; [unrolled: 3-line block ×3, first 2 shown]
	v_add_f16_e32 v13, v26, v47
	v_mul_f16_e32 v49, 0x36a6, v37
	v_mul_f16_e32 v37, 0xb93d, v37
	v_add_f16_e32 v12, v13, v12
	v_sub_f16_e32 v13, v46, v33
	v_mul_f16_e32 v50, 0xb08e, v39
	v_mul_f16_e32 v39, 0xbbad, v39
	v_add_f16_e32 v13, v13, v0
	v_sub_f16_e32 v14, v37, v35
	;; [unrolled: 4-line block ×3, first 2 shown]
	v_mul_f16_e32 v45, 0x3abb, v34
	v_mul_f16_e32 v52, 0xbbad, v43
	v_mul_f16_e32 v43, 0x3abb, v43
	v_pk_mul_f16 v34, v34, s22
	v_add_f16_e32 v13, v14, v13
	v_sub_f16_e32 v14, v42, v38
	v_alignbit_b32 v17, v17, v17, 16
	v_add_f16_e32 v13, v14, v13
	v_sub_f16_e32 v14, v43, v41
	v_bfi_b32 v10, s18, v10, v34
	v_pk_add_f16 v1, v1, v0
	v_alignbit_b32 v18, v18, v18, 16
	v_add_f16_e32 v13, v14, v13
	v_pk_add_f16 v10, v45, v10 neg_lo:[0,1] neg_hi:[0,1]
	v_pk_add_f16 v14, v17, v34
	v_bfi_b32 v11, s18, v11, v29
	v_pk_add_f16 v1, v6, v1
	v_bfi_b32 v10, s18, v10, v14
	v_pk_add_f16 v11, v49, v11 neg_lo:[0,1] neg_hi:[0,1]
	v_pk_add_f16 v14, v18, v29
	v_pk_add_f16 v1, v7, v1
	v_alignbit_b32 v23, v23, v23, 16
	v_bfi_b32 v11, s18, v11, v14
	v_bfi_b32 v14, s18, v16, v30
	v_pk_add_f16 v1, v2, v1
	v_pk_add_f16 v14, v50, v14 neg_lo:[0,1] neg_hi:[0,1]
	v_pk_add_f16 v15, v23, v30
	v_pk_add_f16 v1, v3, v1
	v_alignbit_b32 v28, v28, v28, 16
	v_bfi_b32 v14, s18, v14, v15
	v_bfi_b32 v15, s18, v20, v31
	v_pk_add_f16 v1, v4, v1
	v_pk_add_f16 v0, v10, v0
	v_alignbit_b32 v48, v48, v48, 16
	v_pk_add_f16 v15, v51, v15 neg_lo:[0,1] neg_hi:[0,1]
	v_pk_add_f16 v16, v28, v31
	v_pk_add_f16 v1, v5, v1
	;; [unrolled: 1-line block ×3, first 2 shown]
	v_bfi_b32 v2, s18, v21, v27
	v_bfi_b32 v15, s18, v15, v16
	v_pk_add_f16 v1, v8, v1
	v_pk_add_f16 v0, v14, v0
	v_pk_add_f16 v2, v52, v2 neg_lo:[0,1] neg_hi:[0,1]
	v_pk_add_f16 v3, v48, v27
	v_pk_add_f16 v1, v9, v1
	;; [unrolled: 1-line block ×3, first 2 shown]
	v_bfi_b32 v2, s18, v2, v3
	v_lshlrev_b32_e32 v16, 2, v117
	v_pk_add_f16 v1, v32, v1
	v_pk_add_f16 v0, v2, v0
	ds_write2_b32 v16, v1, v0 offset1:1
	v_pack_b32_f16 v0, v13, v12
	v_perm_b32 v1, v118, v62, s19
	ds_write2_b32 v16, v0, v1 offset0:2 offset1:3
	v_perm_b32 v0, v119, v63, s19
	ds_write_b32 v16, v0 offset:16
	v_perm_b32 v0, v125, v124, s19
	v_alignbit_b32 v1, v126, v125, 16
	ds_write2_b32 v16, v0, v1 offset0:5 offset1:6
	v_perm_b32 v0, v122, v59, s19
	v_perm_b32 v1, v123, v66, s19
	ds_write2_b32 v16, v1, v0 offset0:7 offset1:8
	v_bfi_b32 v0, s18, v121, v124
	v_perm_b32 v1, v120, v60, s19
	ds_write2_b32 v16, v1, v0 offset0:9 offset1:10
.LBB0_7:
	s_or_b64 exec, exec, s[0:1]
	s_movk_i32 s4, 0x75
	v_mul_lo_u16_sdwa v0, v92, s4 dst_sel:DWORD dst_unused:UNUSED_PAD src0_sel:BYTE_0 src1_sel:DWORD
	v_sub_u16_sdwa v1, v92, v0 dst_sel:DWORD dst_unused:UNUSED_PAD src0_sel:DWORD src1_sel:BYTE_1
	v_lshrrev_b16_e32 v1, 1, v1
	v_and_b32_e32 v1, 0x7f, v1
	v_add_u16_sdwa v0, v1, v0 dst_sel:DWORD dst_unused:UNUSED_PAD src0_sel:DWORD src1_sel:BYTE_1
	v_lshrrev_b16_e32 v22, 3, v0
	v_mul_lo_u16_e32 v0, 11, v22
	v_sub_u16_e32 v0, v92, v0
	v_and_b32_e32 v23, 0xff, v0
	v_mul_lo_u16_sdwa v4, v40, s4 dst_sel:DWORD dst_unused:UNUSED_PAD src0_sel:BYTE_0 src1_sel:DWORD
	v_lshlrev_b32_e32 v0, 4, v23
	v_sub_u16_sdwa v5, v40, v4 dst_sel:DWORD dst_unused:UNUSED_PAD src0_sel:DWORD src1_sel:BYTE_1
	s_waitcnt lgkmcnt(0)
	; wave barrier
	s_waitcnt lgkmcnt(0)
	global_load_dwordx4 v[0:3], v0, s[2:3]
	v_lshrrev_b16_e32 v5, 1, v5
	v_and_b32_e32 v5, 0x7f, v5
	v_add_u16_sdwa v4, v5, v4 dst_sel:DWORD dst_unused:UNUSED_PAD src0_sel:DWORD src1_sel:BYTE_1
	v_lshrrev_b16_e32 v55, 3, v4
	v_mul_lo_u16_e32 v4, 11, v55
	v_sub_u16_e32 v4, v40, v4
	v_and_b32_e32 v61, 0xff, v4
	v_mul_lo_u16_sdwa v8, v44, s4 dst_sel:DWORD dst_unused:UNUSED_PAD src0_sel:BYTE_0 src1_sel:DWORD
	v_add_u32_e32 v71, 0x200, v91
	v_add_u32_e32 v72, 0x800, v91
	;; [unrolled: 1-line block ×5, first 2 shown]
	v_lshlrev_b32_e32 v4, 4, v61
	v_sub_u16_sdwa v9, v44, v8 dst_sel:DWORD dst_unused:UNUSED_PAD src0_sel:DWORD src1_sel:BYTE_1
	ds_read2_b32 v[24:25], v91 offset1:55
	ds_read2_b32 v[20:21], v71 offset0:92 offset1:147
	ds_read2_b32 v[26:27], v72 offset0:38 offset1:93
	;; [unrolled: 1-line block ×6, first 2 shown]
	global_load_dwordx4 v[4:7], v4, s[2:3]
	v_lshrrev_b16_e32 v9, 1, v9
	v_and_b32_e32 v9, 0x7f, v9
	v_add_u16_sdwa v8, v9, v8 dst_sel:DWORD dst_unused:UNUSED_PAD src0_sel:DWORD src1_sel:BYTE_1
	v_lshrrev_b16_e32 v70, 3, v8
	v_mul_lo_u16_e32 v8, 11, v70
	s_movk_i32 s0, 0xa5
	v_sub_u16_e32 v8, v44, v8
	v_add_co_u32_e64 v48, s[0:1], s0, v92
	v_and_b32_e32 v74, 0xff, v8
	v_mul_lo_u16_sdwa v12, v48, s4 dst_sel:DWORD dst_unused:UNUSED_PAD src0_sel:BYTE_0 src1_sel:DWORD
	v_lshlrev_b32_e32 v8, 4, v74
	global_load_dwordx4 v[8:11], v8, s[2:3]
	v_sub_u16_sdwa v13, v48, v12 dst_sel:DWORD dst_unused:UNUSED_PAD src0_sel:DWORD src1_sel:BYTE_1
	v_lshrrev_b16_e32 v13, 1, v13
	v_and_b32_e32 v13, 0x7f, v13
	v_add_u16_sdwa v12, v13, v12 dst_sel:DWORD dst_unused:UNUSED_PAD src0_sel:DWORD src1_sel:BYTE_1
	v_lshrrev_b16_e32 v75, 3, v12
	v_mul_lo_u16_e32 v12, 11, v75
	v_sub_u16_e32 v12, v48, v12
	v_and_b32_e32 v76, 0xff, v12
	v_lshlrev_b32_e32 v12, 4, v76
	s_movk_i32 s0, 0xdc
	ds_read2_b32 v[36:37], v91 offset0:110 offset1:165
	ds_read2_b32 v[38:39], v72 offset0:148 offset1:203
	global_load_dwordx4 v[12:15], v12, s[2:3]
	v_add_co_u32_e64 v52, s[0:1], s0, v92
	s_mov_b32 s0, 0xba2f
	v_mul_u32_u24_sdwa v16, v52, s0 dst_sel:DWORD dst_unused:UNUSED_PAD src0_sel:WORD_0 src1_sel:DWORD
	v_lshrrev_b32_e32 v83, 19, v16
	v_mul_lo_u16_e32 v16, 11, v83
	v_sub_u16_e32 v84, v52, v16
	v_lshlrev_b16_e32 v16, 2, v84
	v_lshlrev_b32_e32 v16, 2, v16
	global_load_dwordx4 v[16:19], v16, s[2:3]
	s_waitcnt lgkmcnt(7)
	v_lshrrev_b32_e32 v47, 16, v21
	s_waitcnt lgkmcnt(6)
	v_lshrrev_b32_e32 v51, 16, v26
	;; [unrolled: 2-line block ×5, first 2 shown]
	v_lshrrev_b32_e32 v67, 16, v27
	s_waitcnt lgkmcnt(2)
	v_lshrrev_b32_e32 v68, 16, v34
	v_lshrrev_b32_e32 v69, 16, v31
	;; [unrolled: 1-line block ×3, first 2 shown]
	ds_read2_b32 v[41:42], v85 offset0:186 offset1:241
	s_waitcnt lgkmcnt(1)
	v_lshrrev_b32_e32 v80, 16, v38
	ds_read2_b32 v[45:46], v73 offset0:184 offset1:239
	v_lshrrev_b32_e32 v82, 16, v35
	v_add_u32_e32 v81, 0xe00, v91
	s_waitcnt lgkmcnt(1)
	v_lshrrev_b32_e32 v86, 16, v41
	ds_read2_b32 v[49:50], v81 offset0:94 offset1:149
	s_waitcnt lgkmcnt(1)
	v_lshrrev_b32_e32 v88, 16, v45
	v_lshrrev_b32_e32 v89, 16, v39
	;; [unrolled: 1-line block ×4, first 2 shown]
	s_waitcnt lgkmcnt(0)
	v_lshrrev_b32_e32 v90, 16, v49
	ds_read_b32 v128, v91 offset:5280
	s_waitcnt vmcnt(4)
	v_mul_f16_sdwa v134, v47, v0 dst_sel:DWORD dst_unused:UNUSED_PAD src0_sel:DWORD src1_sel:WORD_1
	v_fma_f16 v134, v21, v0, -v134
	v_mul_f16_sdwa v21, v21, v0 dst_sel:DWORD dst_unused:UNUSED_PAD src0_sel:DWORD src1_sel:WORD_1
	v_fma_f16 v21, v47, v0, v21
	v_mul_f16_sdwa v47, v51, v1 dst_sel:DWORD dst_unused:UNUSED_PAD src0_sel:DWORD src1_sel:WORD_1
	v_fma_f16 v47, v26, v1, -v47
	v_mul_f16_sdwa v26, v26, v1 dst_sel:DWORD dst_unused:UNUSED_PAD src0_sel:DWORD src1_sel:WORD_1
	v_fma_f16 v26, v51, v1, v26
	;; [unrolled: 4-line block ×4, first 2 shown]
	v_lshrrev_b32_e32 v131, 16, v28
	v_lshrrev_b32_e32 v132, 16, v50
	v_add_f16_e32 v135, v47, v51
	s_waitcnt lgkmcnt(0)
	v_lshrrev_b32_e32 v133, 16, v128
	v_fma_f16 v135, v135, -0.5, v24
	v_sub_f16_e32 v136, v21, v30
	s_waitcnt vmcnt(3)
	v_mul_f16_sdwa v54, v65, v4 dst_sel:DWORD dst_unused:UNUSED_PAD src0_sel:DWORD src1_sel:WORD_1
	v_fma_f16 v54, v32, v4, -v54
	v_mul_f16_sdwa v32, v32, v4 dst_sel:DWORD dst_unused:UNUSED_PAD src0_sel:DWORD src1_sel:WORD_1
	v_fma_f16 v32, v65, v4, v32
	v_mul_f16_sdwa v65, v67, v5 dst_sel:DWORD dst_unused:UNUSED_PAD src0_sel:DWORD src1_sel:WORD_1
	v_fma_f16 v65, v27, v5, -v65
	v_mul_f16_sdwa v27, v27, v5 dst_sel:DWORD dst_unused:UNUSED_PAD src0_sel:DWORD src1_sel:WORD_1
	v_fma_f16 v27, v67, v5, v27
	v_mul_f16_sdwa v67, v68, v6 dst_sel:DWORD dst_unused:UNUSED_PAD src0_sel:DWORD src1_sel:WORD_1
	v_fma_f16 v67, v34, v6, -v67
	v_mul_f16_sdwa v34, v34, v6 dst_sel:DWORD dst_unused:UNUSED_PAD src0_sel:DWORD src1_sel:WORD_1
	v_fma_f16 v34, v68, v6, v34
	v_mul_f16_sdwa v68, v69, v7 dst_sel:DWORD dst_unused:UNUSED_PAD src0_sel:DWORD src1_sel:WORD_1
	v_fma_f16 v68, v31, v7, -v68
	v_mul_f16_sdwa v31, v31, v7 dst_sel:DWORD dst_unused:UNUSED_PAD src0_sel:DWORD src1_sel:WORD_1
	v_fma_f16 v31, v69, v7, v31
	s_waitcnt vmcnt(2)
	v_mul_f16_sdwa v69, v79, v8 dst_sel:DWORD dst_unused:UNUSED_PAD src0_sel:DWORD src1_sel:WORD_1
	v_fma_f16 v69, v33, v8, -v69
	v_mul_f16_sdwa v33, v33, v8 dst_sel:DWORD dst_unused:UNUSED_PAD src0_sel:DWORD src1_sel:WORD_1
	v_fma_f16 v33, v79, v8, v33
	v_mul_f16_sdwa v79, v80, v9 dst_sel:DWORD dst_unused:UNUSED_PAD src0_sel:DWORD src1_sel:WORD_1
	v_fma_f16 v79, v38, v9, -v79
	v_mul_f16_sdwa v38, v38, v9 dst_sel:DWORD dst_unused:UNUSED_PAD src0_sel:DWORD src1_sel:WORD_1
	v_fma_f16 v38, v80, v9, v38
	v_mul_f16_sdwa v80, v82, v10 dst_sel:DWORD dst_unused:UNUSED_PAD src0_sel:DWORD src1_sel:WORD_1
	v_fma_f16 v80, v35, v10, -v80
	v_mul_f16_sdwa v35, v35, v10 dst_sel:DWORD dst_unused:UNUSED_PAD src0_sel:DWORD src1_sel:WORD_1
	v_fma_f16 v35, v82, v10, v35
	v_mul_f16_sdwa v82, v86, v11 dst_sel:DWORD dst_unused:UNUSED_PAD src0_sel:DWORD src1_sel:WORD_1
	v_fma_f16 v82, v41, v11, -v82
	v_mul_f16_sdwa v41, v41, v11 dst_sel:DWORD dst_unused:UNUSED_PAD src0_sel:DWORD src1_sel:WORD_1
	v_fma_f16 v41, v86, v11, v41
	;; [unrolled: 17-line block ×3, first 2 shown]
	s_waitcnt vmcnt(0)
	v_mul_f16_sdwa v127, v130, v16 dst_sel:DWORD dst_unused:UNUSED_PAD src0_sel:DWORD src1_sel:WORD_1
	v_fma_f16 v127, v46, v16, -v127
	v_mul_f16_sdwa v46, v46, v16 dst_sel:DWORD dst_unused:UNUSED_PAD src0_sel:DWORD src1_sel:WORD_1
	v_fma_f16 v46, v130, v16, v46
	v_mul_f16_sdwa v130, v131, v17 dst_sel:DWORD dst_unused:UNUSED_PAD src0_sel:DWORD src1_sel:WORD_1
	v_fma_f16 v130, v28, v17, -v130
	v_mul_f16_sdwa v28, v28, v17 dst_sel:DWORD dst_unused:UNUSED_PAD src0_sel:DWORD src1_sel:WORD_1
	v_fma_f16 v28, v131, v17, v28
	v_mul_f16_sdwa v131, v132, v18 dst_sel:DWORD dst_unused:UNUSED_PAD src0_sel:DWORD src1_sel:WORD_1
	v_fma_f16 v131, v50, v18, -v131
	v_mul_f16_sdwa v50, v50, v18 dst_sel:DWORD dst_unused:UNUSED_PAD src0_sel:DWORD src1_sel:WORD_1
	s_movk_i32 s13, 0x3b9c
	s_mov_b32 s17, 0xbb9c
	v_fma_f16 v50, v132, v18, v50
	v_mul_f16_sdwa v132, v133, v19 dst_sel:DWORD dst_unused:UNUSED_PAD src0_sel:DWORD src1_sel:WORD_1
	v_fma_f16 v137, v136, s13, v135
	v_sub_f16_e32 v138, v26, v29
	s_movk_i32 s12, 0x38b4
	v_sub_f16_e32 v139, v134, v47
	v_sub_f16_e32 v140, v53, v51
	v_fma_f16 v135, v136, s17, v135
	s_mov_b32 s18, 0xb8b4
	v_fma_f16 v132, v128, v19, -v132
	v_mul_f16_sdwa v128, v128, v19 dst_sel:DWORD dst_unused:UNUSED_PAD src0_sel:DWORD src1_sel:WORD_1
	v_fma_f16 v137, v138, s12, v137
	v_add_f16_e32 v139, v139, v140
	s_movk_i32 s16, 0x34f2
	v_fma_f16 v135, v138, s18, v135
	v_fma_f16 v128, v133, v19, v128
	v_add_f16_e32 v133, v24, v134
	v_fma_f16 v137, v139, s16, v137
	v_fma_f16 v135, v139, s16, v135
	v_add_f16_e32 v139, v134, v53
	v_lshrrev_b32_e32 v43, 16, v24
	v_add_f16_e32 v133, v133, v47
	v_fma_f16 v24, v139, -0.5, v24
	v_add_f16_e32 v133, v133, v51
	v_fma_f16 v139, v138, s17, v24
	v_fma_f16 v24, v138, s13, v24
	v_add_f16_e32 v138, v26, v29
	v_add_f16_e32 v133, v133, v53
	v_sub_f16_e32 v140, v47, v134
	v_sub_f16_e32 v141, v51, v53
	v_fma_f16 v138, v138, -0.5, v43
	v_sub_f16_e32 v53, v134, v53
	v_fma_f16 v139, v136, s12, v139
	v_add_f16_e32 v140, v140, v141
	v_fma_f16 v24, v136, s18, v24
	v_fma_f16 v134, v53, s17, v138
	v_sub_f16_e32 v47, v47, v51
	v_fma_f16 v139, v140, s16, v139
	v_fma_f16 v24, v140, s16, v24
	;; [unrolled: 1-line block ×3, first 2 shown]
	v_sub_f16_e32 v134, v21, v26
	v_sub_f16_e32 v140, v30, v29
	v_fma_f16 v138, v53, s13, v138
	v_add_f16_e32 v136, v43, v21
	v_add_f16_e32 v134, v134, v140
	v_fma_f16 v138, v47, s12, v138
	v_add_f16_e32 v136, v136, v26
	v_fma_f16 v51, v134, s16, v51
	v_fma_f16 v134, v134, s16, v138
	v_add_f16_e32 v138, v21, v30
	v_add_f16_e32 v136, v136, v29
	v_fma_f16 v43, v138, -0.5, v43
	v_add_f16_e32 v136, v136, v30
	v_fma_f16 v138, v47, s13, v43
	v_sub_f16_e32 v21, v26, v21
	v_sub_f16_e32 v26, v29, v30
	v_add_f16_e32 v30, v65, v67
	v_fma_f16 v138, v53, s18, v138
	v_add_f16_e32 v21, v21, v26
	v_fma_f16 v29, v47, s17, v43
	v_fma_f16 v30, v30, -0.5, v25
	v_sub_f16_e32 v43, v32, v31
	v_fma_f16 v26, v21, s16, v138
	v_fma_f16 v29, v53, s12, v29
	;; [unrolled: 1-line block ×3, first 2 shown]
	v_sub_f16_e32 v53, v27, v34
	v_sub_f16_e32 v138, v54, v65
	v_sub_f16_e32 v140, v68, v67
	v_fma_f16 v30, v43, s17, v30
	v_fma_f16 v47, v53, s12, v47
	v_add_f16_e32 v138, v138, v140
	v_fma_f16 v30, v53, s18, v30
	v_fma_f16 v47, v138, s16, v47
	v_fma_f16 v30, v138, s16, v30
	v_add_f16_e32 v138, v54, v68
	v_lshrrev_b32_e32 v64, 16, v25
	v_fma_f16 v21, v21, s16, v29
	v_add_f16_e32 v29, v25, v54
	v_fma_f16 v25, v138, -0.5, v25
	v_add_f16_e32 v29, v29, v65
	v_fma_f16 v138, v53, s17, v25
	v_fma_f16 v25, v53, s13, v25
	v_add_f16_e32 v53, v27, v34
	v_add_f16_e32 v29, v29, v67
	v_sub_f16_e32 v140, v65, v54
	v_sub_f16_e32 v141, v67, v68
	v_fma_f16 v53, v53, -0.5, v64
	v_sub_f16_e32 v54, v54, v68
	v_add_f16_e32 v29, v29, v68
	v_fma_f16 v138, v43, s12, v138
	v_add_f16_e32 v140, v140, v141
	v_fma_f16 v25, v43, s18, v25
	v_fma_f16 v68, v54, s17, v53
	v_sub_f16_e32 v65, v65, v67
	v_fma_f16 v138, v140, s16, v138
	v_fma_f16 v25, v140, s16, v25
	v_fma_f16 v67, v65, s18, v68
	v_sub_f16_e32 v68, v32, v27
	v_sub_f16_e32 v140, v31, v34
	v_fma_f16 v53, v54, s13, v53
	v_add_f16_e32 v43, v64, v32
	v_add_f16_e32 v68, v68, v140
	v_fma_f16 v53, v65, s12, v53
	v_add_f16_e32 v43, v43, v27
	v_fma_f16 v67, v68, s16, v67
	v_fma_f16 v53, v68, s16, v53
	v_add_f16_e32 v68, v32, v31
	v_add_f16_e32 v43, v43, v34
	v_fma_f16 v64, v68, -0.5, v64
	v_add_f16_e32 v43, v43, v31
	v_fma_f16 v68, v65, s13, v64
	v_sub_f16_e32 v27, v27, v32
	v_sub_f16_e32 v31, v34, v31
	v_fma_f16 v32, v65, s17, v64
	v_add_f16_e32 v34, v79, v80
	v_fma_f16 v68, v54, s18, v68
	v_add_f16_e32 v27, v27, v31
	v_fma_f16 v32, v54, s12, v32
	v_fma_f16 v34, v34, -0.5, v36
	v_sub_f16_e32 v54, v33, v41
	v_fma_f16 v31, v27, s16, v68
	v_fma_f16 v64, v54, s13, v34
	v_sub_f16_e32 v65, v38, v35
	v_sub_f16_e32 v68, v69, v79
	v_sub_f16_e32 v140, v82, v80
	v_fma_f16 v34, v54, s17, v34
	v_fma_f16 v64, v65, s12, v64
	v_add_f16_e32 v68, v68, v140
	v_fma_f16 v34, v65, s18, v34
	v_fma_f16 v64, v68, s16, v64
	v_fma_f16 v34, v68, s16, v34
	v_add_f16_e32 v68, v69, v82
	v_lshrrev_b32_e32 v78, 16, v36
	v_fma_f16 v27, v27, s16, v32
	v_add_f16_e32 v32, v36, v69
	v_fma_f16 v36, v68, -0.5, v36
	v_add_f16_e32 v32, v32, v79
	v_fma_f16 v68, v65, s17, v36
	v_fma_f16 v36, v65, s13, v36
	v_add_f16_e32 v65, v38, v35
	v_add_f16_e32 v32, v32, v80
	v_sub_f16_e32 v140, v79, v69
	v_sub_f16_e32 v141, v80, v82
	v_fma_f16 v65, v65, -0.5, v78
	v_sub_f16_e32 v69, v69, v82
	v_add_f16_e32 v32, v32, v82
	v_fma_f16 v68, v54, s12, v68
	v_add_f16_e32 v140, v140, v141
	v_fma_f16 v36, v54, s18, v36
	v_fma_f16 v82, v69, s17, v65
	v_sub_f16_e32 v79, v79, v80
	v_fma_f16 v68, v140, s16, v68
	v_fma_f16 v36, v140, s16, v36
	v_fma_f16 v80, v79, s18, v82
	v_sub_f16_e32 v82, v33, v38
	v_sub_f16_e32 v140, v41, v35
	v_fma_f16 v65, v69, s13, v65
	v_add_f16_e32 v54, v78, v33
	v_add_f16_e32 v82, v82, v140
	v_fma_f16 v65, v79, s12, v65
	v_add_f16_e32 v54, v54, v38
	v_fma_f16 v80, v82, s16, v80
	v_fma_f16 v65, v82, s16, v65
	v_add_f16_e32 v82, v33, v41
	v_add_f16_e32 v54, v54, v35
	v_fma_f16 v78, v82, -0.5, v78
	v_add_f16_e32 v54, v54, v41
	v_fma_f16 v82, v79, s13, v78
	v_sub_f16_e32 v33, v38, v33
	v_sub_f16_e32 v35, v35, v41
	v_fma_f16 v38, v79, s17, v78
	v_add_f16_e32 v41, v88, v89
	v_fma_f16 v82, v69, s18, v82
	v_add_f16_e32 v33, v33, v35
	v_fma_f16 v38, v69, s12, v38
	v_fma_f16 v41, v41, -0.5, v37
	v_sub_f16_e32 v69, v45, v42
	v_fma_f16 v35, v33, s16, v82
	v_fma_f16 v78, v69, s13, v41
	;; [unrolled: 57-line block ×3, first 2 shown]
	v_sub_f16_e32 v88, v28, v50
	v_sub_f16_e32 v90, v127, v130
	;; [unrolled: 1-line block ×3, first 2 shown]
	v_fma_f16 v49, v86, s17, v49
	v_fma_f16 v87, v88, s12, v87
	v_add_f16_e32 v90, v90, v140
	v_fma_f16 v49, v88, s18, v49
	v_fma_f16 v87, v90, s16, v87
	;; [unrolled: 1-line block ×3, first 2 shown]
	v_add_f16_e32 v90, v127, v132
	v_lshrrev_b32_e32 v129, 16, v20
	v_fma_f16 v39, v39, s16, v45
	v_add_f16_e32 v45, v20, v127
	v_fma_f16 v20, v90, -0.5, v20
	v_add_f16_e32 v45, v45, v130
	v_fma_f16 v90, v88, s17, v20
	v_fma_f16 v20, v88, s13, v20
	v_add_f16_e32 v88, v28, v50
	v_add_f16_e32 v45, v45, v131
	v_sub_f16_e32 v140, v130, v127
	v_sub_f16_e32 v141, v131, v132
	v_fma_f16 v88, v88, -0.5, v129
	v_sub_f16_e32 v127, v127, v132
	v_add_f16_e32 v45, v45, v132
	v_fma_f16 v90, v86, s12, v90
	v_add_f16_e32 v140, v140, v141
	v_fma_f16 v20, v86, s18, v20
	v_fma_f16 v132, v127, s17, v88
	v_sub_f16_e32 v130, v130, v131
	v_fma_f16 v90, v140, s16, v90
	v_fma_f16 v20, v140, s16, v20
	;; [unrolled: 1-line block ×3, first 2 shown]
	v_sub_f16_e32 v132, v46, v28
	v_sub_f16_e32 v140, v128, v50
	v_add_f16_e32 v132, v132, v140
	v_add_f16_e32 v86, v129, v46
	v_fma_f16 v140, v132, s16, v131
	v_add_f16_e32 v131, v46, v128
	v_add_f16_e32 v86, v86, v28
	v_fma_f16 v129, v131, -0.5, v129
	v_add_f16_e32 v86, v86, v50
	v_fma_f16 v131, v130, s13, v129
	v_sub_f16_e32 v28, v28, v46
	v_sub_f16_e32 v46, v50, v128
	v_fma_f16 v50, v130, s17, v129
	v_mul_u32_u24_e32 v22, 55, v22
	v_fma_f16 v88, v127, s13, v88
	v_fma_f16 v131, v127, s18, v131
	;; [unrolled: 1-line block ×3, first 2 shown]
	v_add_lshl_u32 v127, v22, v23, 2
	v_pack_b32_f16 v22, v133, v136
	v_pack_b32_f16 v23, v137, v51
	s_waitcnt lgkmcnt(0)
	; wave barrier
	ds_write2_b32 v127, v22, v23 offset1:11
	v_pack_b32_f16 v22, v139, v26
	v_pack_b32_f16 v21, v24, v21
	ds_write2_b32 v127, v22, v21 offset0:22 offset1:33
	v_pack_b32_f16 v21, v135, v134
	ds_write_b32 v127, v21 offset:176
	v_mul_u32_u24_e32 v21, 55, v55
	v_add_f16_e32 v86, v86, v128
	v_add_lshl_u32 v128, v21, v61, 2
	v_pack_b32_f16 v21, v29, v43
	v_pack_b32_f16 v22, v47, v67
	ds_write2_b32 v128, v21, v22 offset1:11
	v_pack_b32_f16 v21, v138, v31
	v_pack_b32_f16 v22, v25, v27
	ds_write2_b32 v128, v21, v22 offset0:22 offset1:33
	v_pack_b32_f16 v21, v30, v53
	ds_write_b32 v128, v21 offset:176
	v_mul_u32_u24_e32 v21, 55, v70
	v_add_lshl_u32 v129, v21, v74, 2
	v_pack_b32_f16 v21, v32, v54
	v_pack_b32_f16 v22, v64, v80
	ds_write2_b32 v129, v21, v22 offset1:11
	v_pack_b32_f16 v21, v68, v35
	v_pack_b32_f16 v22, v36, v33
	ds_write2_b32 v129, v21, v22 offset0:22 offset1:33
	v_pack_b32_f16 v21, v34, v65
	ds_write_b32 v129, v21 offset:176
	v_mul_u32_u24_e32 v21, 55, v75
	v_fma_f16 v88, v130, s12, v88
	v_add_lshl_u32 v130, v21, v76, 2
	v_pack_b32_f16 v21, v38, v69
	v_pack_b32_f16 v22, v78, v89
	ds_write2_b32 v130, v21, v22 offset1:11
	v_pack_b32_f16 v21, v82, v42
	v_pack_b32_f16 v22, v37, v39
	ds_write2_b32 v130, v21, v22 offset0:22 offset1:33
	v_pack_b32_f16 v21, v41, v79
	v_add_f16_e32 v28, v28, v46
	ds_write_b32 v130, v21 offset:176
	v_mad_legacy_u16 v21, v83, 55, v84
	v_fma_f16 v46, v28, s16, v131
	v_fma_f16 v28, v28, s16, v50
	v_lshlrev_b32_e32 v131, 2, v21
	v_pack_b32_f16 v21, v45, v86
	v_pack_b32_f16 v22, v87, v140
	v_fma_f16 v88, v132, s16, v88
	ds_write2_b32 v131, v21, v22 offset1:11
	v_pack_b32_f16 v21, v90, v46
	v_pack_b32_f16 v20, v20, v28
	ds_write2_b32 v131, v21, v20 offset0:22 offset1:33
	v_pack_b32_f16 v20, v49, v88
	v_lshlrev_b32_e32 v36, 4, v92
	ds_write_b32 v131, v20 offset:176
	s_waitcnt lgkmcnt(0)
	; wave barrier
	s_waitcnt lgkmcnt(0)
	global_load_dwordx4 v[20:23], v36, s[2:3] offset:176
	s_movk_i32 s0, 0x95
	v_mul_lo_u16_sdwa v24, v44, s0 dst_sel:DWORD dst_unused:UNUSED_PAD src0_sel:BYTE_0 src1_sel:DWORD
	v_lshrrev_b16_e32 v24, 13, v24
	v_mul_lo_u16_e32 v24, 55, v24
	v_sub_u16_e32 v76, v44, v24
	v_mov_b32_e32 v28, 4
	v_lshlrev_b32_sdwa v24, v28, v76 dst_sel:DWORD dst_unused:UNUSED_PAD src0_sel:DWORD src1_sel:BYTE_0
	ds_read2_b32 v[37:38], v91 offset1:55
	ds_read2_b32 v[41:42], v71 offset0:92 offset1:147
	ds_read2_b32 v[45:46], v72 offset0:38 offset1:93
	;; [unrolled: 1-line block ×4, first 2 shown]
	global_load_dwordx4 v[24:27], v24, s[2:3] offset:176
	v_mul_lo_u16_sdwa v29, v48, s0 dst_sel:DWORD dst_unused:UNUSED_PAD src0_sel:BYTE_0 src1_sel:DWORD
	v_lshrrev_b16_e32 v29, 13, v29
	v_mul_lo_u16_e32 v29, 55, v29
	s_movk_i32 s0, 0x29e5
	v_sub_u16_e32 v134, v48, v29
	v_mul_u32_u24_sdwa v32, v52, s0 dst_sel:DWORD dst_unused:UNUSED_PAD src0_sel:WORD_0 src1_sel:DWORD
	v_lshlrev_b32_sdwa v28, v28, v134 dst_sel:DWORD dst_unused:UNUSED_PAD src0_sel:DWORD src1_sel:BYTE_0
	global_load_dwordx4 v[28:31], v28, s[2:3] offset:176
	v_sub_u16_sdwa v33, v52, v32 dst_sel:DWORD dst_unused:UNUSED_PAD src0_sel:DWORD src1_sel:WORD_1
	v_lshrrev_b16_e32 v33, 1, v33
	v_add_u16_sdwa v32, v33, v32 dst_sel:DWORD dst_unused:UNUSED_PAD src0_sel:DWORD src1_sel:WORD_1
	v_lshrrev_b16_e32 v32, 5, v32
	v_mul_lo_u16_e32 v32, 55, v32
	v_sub_u16_e32 v135, v52, v32
	v_lshlrev_b16_e32 v32, 4, v135
	v_mov_b32_e32 v33, s3
	v_add_co_u32_e64 v32, s[0:1], s2, v32
	v_addc_co_u32_e64 v33, s[0:1], 0, v33, s[0:1]
	global_load_dwordx4 v[32:35], v[32:33], off offset:176
	s_waitcnt lgkmcnt(3)
	v_lshrrev_b32_e32 v43, 16, v42
	s_waitcnt lgkmcnt(2)
	v_lshrrev_b32_e32 v47, 16, v45
	ds_read2_b32 v[64:65], v73 offset0:74 offset1:129
	s_waitcnt lgkmcnt(2)
	v_lshrrev_b32_e32 v51, 16, v50
	s_waitcnt lgkmcnt(1)
	v_lshrrev_b32_e32 v55, 16, v53
	ds_read2_b32 v[67:68], v77 offset0:112 offset1:167
	v_lshrrev_b32_e32 v84, 16, v46
	s_waitcnt lgkmcnt(1)
	v_lshrrev_b32_e32 v80, 16, v64
	ds_read2_b32 v[74:75], v72 offset0:148 offset1:203
	v_lshrrev_b32_e32 v89, 16, v54
	s_waitcnt lgkmcnt(1)
	v_lshrrev_b32_e32 v88, 16, v67
	v_lshrrev_b32_e32 v132, 16, v65
	ds_read2_b32 v[78:79], v85 offset0:186 offset1:241
	s_waitcnt lgkmcnt(1)
	v_lshrrev_b32_e32 v133, 16, v74
	ds_read2_b32 v[82:83], v73 offset0:184 offset1:239
	v_lshrrev_b32_e32 v136, 16, v68
	ds_read2_b32 v[86:87], v81 offset0:94 offset1:149
	s_waitcnt lgkmcnt(2)
	v_lshrrev_b32_e32 v137, 16, v78
	v_lshrrev_b32_e32 v140, 16, v75
	s_waitcnt lgkmcnt(1)
	v_lshrrev_b32_e32 v139, 16, v82
	v_lshrrev_b32_e32 v142, 16, v79
	;; [unrolled: 3-line block ×3, first 2 shown]
	ds_read_b32 v143, v91 offset:5280
	v_lshrrev_b32_e32 v146, 16, v49
	v_lshrrev_b32_e32 v147, 16, v87
	;; [unrolled: 1-line block ×4, first 2 shown]
	s_waitcnt lgkmcnt(0)
	v_lshrrev_b32_e32 v148, 16, v143
	ds_read2_b32 v[69:70], v91 offset0:110 offset1:165
	v_lshrrev_b32_e32 v144, 16, v41
	s_waitcnt lgkmcnt(0)
	; wave barrier
	s_waitcnt lgkmcnt(0)
	v_lshlrev_b32_e32 v40, 4, v40
	v_lshrrev_b32_e32 v90, 16, v69
	v_lshrrev_b32_e32 v138, 16, v70
	v_lshlrev_b32_e32 v44, 4, v44
	v_lshlrev_b32_e32 v48, 4, v48
	;; [unrolled: 1-line block ×3, first 2 shown]
	s_add_u32 s4, s6, 0x157c
	s_addc_u32 s5, s7, 0
	s_waitcnt vmcnt(3)
	v_mul_f16_sdwa v149, v43, v20 dst_sel:DWORD dst_unused:UNUSED_PAD src0_sel:DWORD src1_sel:WORD_1
	v_fma_f16 v149, v42, v20, -v149
	v_mul_f16_sdwa v42, v42, v20 dst_sel:DWORD dst_unused:UNUSED_PAD src0_sel:DWORD src1_sel:WORD_1
	v_fma_f16 v42, v43, v20, v42
	v_mul_f16_sdwa v43, v47, v21 dst_sel:DWORD dst_unused:UNUSED_PAD src0_sel:DWORD src1_sel:WORD_1
	v_fma_f16 v43, v45, v21, -v43
	v_mul_f16_sdwa v45, v45, v21 dst_sel:DWORD dst_unused:UNUSED_PAD src0_sel:DWORD src1_sel:WORD_1
	v_fma_f16 v45, v47, v21, v45
	;; [unrolled: 4-line block ×8, first 2 shown]
	s_waitcnt vmcnt(2)
	v_mul_f16_sdwa v89, v132, v24 dst_sel:DWORD dst_unused:UNUSED_PAD src0_sel:DWORD src1_sel:WORD_1
	v_fma_f16 v89, v65, v24, -v89
	v_mul_f16_sdwa v65, v65, v24 dst_sel:DWORD dst_unused:UNUSED_PAD src0_sel:DWORD src1_sel:WORD_1
	v_fma_f16 v65, v132, v24, v65
	v_mul_f16_sdwa v132, v133, v25 dst_sel:DWORD dst_unused:UNUSED_PAD src0_sel:DWORD src1_sel:WORD_1
	v_fma_f16 v132, v74, v25, -v132
	v_mul_f16_sdwa v74, v74, v25 dst_sel:DWORD dst_unused:UNUSED_PAD src0_sel:DWORD src1_sel:WORD_1
	v_fma_f16 v74, v133, v25, v74
	;; [unrolled: 4-line block ×4, first 2 shown]
	s_waitcnt vmcnt(1)
	v_mul_f16_sdwa v137, v139, v28 dst_sel:DWORD dst_unused:UNUSED_PAD src0_sel:DWORD src1_sel:WORD_1
	v_fma_f16 v137, v82, v28, -v137
	v_mul_f16_sdwa v82, v82, v28 dst_sel:DWORD dst_unused:UNUSED_PAD src0_sel:DWORD src1_sel:WORD_1
	v_fma_f16 v82, v139, v28, v82
	v_mul_f16_sdwa v139, v140, v29 dst_sel:DWORD dst_unused:UNUSED_PAD src0_sel:DWORD src1_sel:WORD_1
	v_fma_f16 v139, v75, v29, -v139
	v_mul_f16_sdwa v75, v75, v29 dst_sel:DWORD dst_unused:UNUSED_PAD src0_sel:DWORD src1_sel:WORD_1
	v_fma_f16 v75, v140, v29, v75
	;; [unrolled: 4-line block ×4, first 2 shown]
	s_waitcnt vmcnt(0)
	v_mul_f16_sdwa v142, v145, v32 dst_sel:DWORD dst_unused:UNUSED_PAD src0_sel:DWORD src1_sel:WORD_1
	v_fma_f16 v142, v83, v32, -v142
	v_mul_f16_sdwa v83, v83, v32 dst_sel:DWORD dst_unused:UNUSED_PAD src0_sel:DWORD src1_sel:WORD_1
	v_fma_f16 v83, v145, v32, v83
	v_mul_f16_sdwa v145, v146, v33 dst_sel:DWORD dst_unused:UNUSED_PAD src0_sel:DWORD src1_sel:WORD_1
	v_fma_f16 v145, v49, v33, -v145
	v_mul_f16_sdwa v49, v49, v33 dst_sel:DWORD dst_unused:UNUSED_PAD src0_sel:DWORD src1_sel:WORD_1
	v_fma_f16 v49, v146, v33, v49
	v_mul_f16_sdwa v146, v147, v34 dst_sel:DWORD dst_unused:UNUSED_PAD src0_sel:DWORD src1_sel:WORD_1
	v_add_f16_e32 v150, v43, v47
	v_fma_f16 v146, v87, v34, -v146
	v_mul_f16_sdwa v87, v87, v34 dst_sel:DWORD dst_unused:UNUSED_PAD src0_sel:DWORD src1_sel:WORD_1
	v_fma_f16 v150, v150, -0.5, v37
	v_sub_f16_e32 v151, v42, v53
	v_fma_f16 v87, v147, v34, v87
	v_mul_f16_sdwa v147, v148, v35 dst_sel:DWORD dst_unused:UNUSED_PAD src0_sel:DWORD src1_sel:WORD_1
	v_fma_f16 v152, v151, s13, v150
	v_sub_f16_e32 v153, v45, v50
	v_sub_f16_e32 v154, v149, v43
	;; [unrolled: 1-line block ×3, first 2 shown]
	v_fma_f16 v150, v151, s17, v150
	v_fma_f16 v147, v143, v35, -v147
	v_mul_f16_sdwa v143, v143, v35 dst_sel:DWORD dst_unused:UNUSED_PAD src0_sel:DWORD src1_sel:WORD_1
	v_fma_f16 v152, v153, s12, v152
	v_add_f16_e32 v154, v154, v155
	v_fma_f16 v150, v153, s18, v150
	v_fma_f16 v143, v148, v35, v143
	v_add_f16_e32 v148, v37, v149
	v_fma_f16 v152, v154, s16, v152
	v_fma_f16 v150, v154, s16, v150
	v_add_f16_e32 v154, v149, v51
	v_add_f16_e32 v148, v148, v43
	v_fma_f16 v37, v154, -0.5, v37
	v_add_f16_e32 v148, v148, v47
	v_fma_f16 v154, v153, s17, v37
	v_fma_f16 v37, v153, s13, v37
	v_add_f16_e32 v153, v45, v50
	v_add_f16_e32 v148, v148, v51
	v_sub_f16_e32 v155, v43, v149
	v_sub_f16_e32 v156, v47, v51
	v_fma_f16 v153, v153, -0.5, v39
	v_sub_f16_e32 v51, v149, v51
	v_fma_f16 v154, v151, s12, v154
	v_add_f16_e32 v155, v155, v156
	v_fma_f16 v37, v151, s18, v37
	v_fma_f16 v149, v51, s17, v153
	v_sub_f16_e32 v43, v43, v47
	v_fma_f16 v154, v155, s16, v154
	v_fma_f16 v37, v155, s16, v37
	;; [unrolled: 1-line block ×3, first 2 shown]
	v_sub_f16_e32 v149, v42, v45
	v_sub_f16_e32 v155, v53, v50
	v_fma_f16 v153, v51, s13, v153
	v_add_f16_e32 v149, v149, v155
	v_fma_f16 v153, v43, s12, v153
	v_fma_f16 v47, v149, s16, v47
	;; [unrolled: 1-line block ×3, first 2 shown]
	v_add_f16_e32 v153, v42, v53
	v_add_f16_e32 v151, v39, v42
	v_fma_f16 v39, v153, -0.5, v39
	v_add_f16_e32 v151, v151, v45
	v_fma_f16 v153, v43, s13, v39
	v_sub_f16_e32 v42, v45, v42
	v_sub_f16_e32 v45, v50, v53
	v_fma_f16 v39, v43, s17, v39
	v_add_f16_e32 v43, v80, v84
	v_add_f16_e32 v151, v151, v50
	v_fma_f16 v153, v51, s18, v153
	v_add_f16_e32 v42, v42, v45
	v_fma_f16 v43, v43, -0.5, v38
	v_sub_f16_e32 v50, v64, v54
	v_add_f16_e32 v151, v151, v53
	v_fma_f16 v45, v42, s16, v153
	v_fma_f16 v39, v51, s12, v39
	v_fma_f16 v51, v50, s13, v43
	v_sub_f16_e32 v53, v46, v67
	v_sub_f16_e32 v153, v55, v80
	;; [unrolled: 1-line block ×3, first 2 shown]
	v_fma_f16 v43, v50, s17, v43
	v_fma_f16 v51, v53, s12, v51
	v_add_f16_e32 v153, v153, v155
	v_fma_f16 v43, v53, s18, v43
	v_fma_f16 v51, v153, s16, v51
	;; [unrolled: 1-line block ×3, first 2 shown]
	v_add_f16_e32 v153, v55, v88
	v_fma_f16 v39, v42, s16, v39
	v_add_f16_e32 v42, v38, v55
	v_fma_f16 v38, v153, -0.5, v38
	v_add_f16_e32 v42, v42, v80
	v_fma_f16 v153, v53, s17, v38
	v_fma_f16 v38, v53, s13, v38
	v_add_f16_e32 v53, v46, v67
	v_add_f16_e32 v42, v42, v84
	v_sub_f16_e32 v155, v80, v55
	v_sub_f16_e32 v156, v84, v88
	v_fma_f16 v53, v53, -0.5, v61
	v_sub_f16_e32 v55, v55, v88
	v_add_f16_e32 v42, v42, v88
	v_fma_f16 v153, v50, s12, v153
	v_add_f16_e32 v155, v155, v156
	v_fma_f16 v38, v50, s18, v38
	v_fma_f16 v88, v55, s17, v53
	v_sub_f16_e32 v80, v80, v84
	v_fma_f16 v153, v155, s16, v153
	v_fma_f16 v38, v155, s16, v38
	;; [unrolled: 1-line block ×3, first 2 shown]
	v_sub_f16_e32 v88, v64, v46
	v_sub_f16_e32 v155, v54, v67
	v_fma_f16 v53, v55, s13, v53
	v_add_f16_e32 v88, v88, v155
	v_fma_f16 v53, v80, s12, v53
	v_add_f16_e32 v50, v61, v64
	v_fma_f16 v84, v88, s16, v84
	v_fma_f16 v53, v88, s16, v53
	v_add_f16_e32 v88, v64, v54
	v_add_f16_e32 v50, v50, v46
	v_fma_f16 v61, v88, -0.5, v61
	v_add_f16_e32 v50, v50, v67
	v_fma_f16 v88, v80, s13, v61
	v_fma_f16 v61, v80, s17, v61
	v_add_f16_e32 v50, v50, v54
	v_fma_f16 v88, v55, s18, v88
	v_sub_f16_e32 v46, v46, v64
	v_sub_f16_e32 v54, v67, v54
	v_fma_f16 v55, v55, s12, v61
	v_add_f16_e32 v61, v132, v133
	v_add_f16_e32 v46, v46, v54
	v_fma_f16 v61, v61, -0.5, v69
	v_sub_f16_e32 v64, v65, v78
	v_fma_f16 v54, v46, s16, v88
	v_fma_f16 v67, v64, s13, v61
	v_sub_f16_e32 v80, v74, v68
	v_sub_f16_e32 v88, v89, v132
	;; [unrolled: 1-line block ×3, first 2 shown]
	v_fma_f16 v61, v64, s17, v61
	v_fma_f16 v67, v80, s12, v67
	v_add_f16_e32 v88, v88, v155
	v_fma_f16 v61, v80, s18, v61
	v_fma_f16 v67, v88, s16, v67
	;; [unrolled: 1-line block ×3, first 2 shown]
	v_add_f16_e32 v88, v89, v136
	v_fma_f16 v46, v46, s16, v55
	v_add_f16_e32 v55, v69, v89
	v_fma_f16 v69, v88, -0.5, v69
	v_add_f16_e32 v55, v55, v132
	v_fma_f16 v88, v80, s17, v69
	v_fma_f16 v69, v80, s13, v69
	v_add_f16_e32 v80, v74, v68
	v_add_f16_e32 v55, v55, v133
	v_sub_f16_e32 v155, v132, v89
	v_sub_f16_e32 v156, v133, v136
	v_fma_f16 v80, v80, -0.5, v90
	v_sub_f16_e32 v89, v89, v136
	v_add_f16_e32 v55, v55, v136
	v_fma_f16 v88, v64, s12, v88
	v_add_f16_e32 v155, v155, v156
	v_fma_f16 v64, v64, s18, v69
	v_fma_f16 v136, v89, s17, v80
	v_sub_f16_e32 v132, v132, v133
	v_fma_f16 v88, v155, s16, v88
	v_fma_f16 v64, v155, s16, v64
	;; [unrolled: 1-line block ×3, first 2 shown]
	v_sub_f16_e32 v136, v65, v74
	v_sub_f16_e32 v155, v78, v68
	v_fma_f16 v80, v89, s13, v80
	v_add_f16_e32 v69, v90, v65
	v_add_f16_e32 v136, v136, v155
	v_fma_f16 v80, v132, s12, v80
	v_add_f16_e32 v69, v69, v74
	v_fma_f16 v133, v136, s16, v133
	v_fma_f16 v80, v136, s16, v80
	v_add_f16_e32 v136, v65, v78
	v_add_f16_e32 v69, v69, v68
	v_fma_f16 v90, v136, -0.5, v90
	v_add_f16_e32 v69, v69, v78
	v_fma_f16 v136, v132, s13, v90
	v_sub_f16_e32 v65, v74, v65
	v_sub_f16_e32 v68, v68, v78
	v_fma_f16 v74, v132, s17, v90
	v_add_f16_e32 v78, v139, v140
	v_fma_f16 v136, v89, s18, v136
	v_add_f16_e32 v65, v65, v68
	v_fma_f16 v74, v89, s12, v74
	v_fma_f16 v78, v78, -0.5, v70
	v_sub_f16_e32 v89, v82, v79
	v_fma_f16 v68, v65, s16, v136
	v_fma_f16 v90, v89, s13, v78
	v_sub_f16_e32 v132, v75, v86
	v_sub_f16_e32 v136, v137, v139
	;; [unrolled: 1-line block ×3, first 2 shown]
	v_fma_f16 v78, v89, s17, v78
	v_fma_f16 v90, v132, s12, v90
	v_add_f16_e32 v136, v136, v155
	v_fma_f16 v78, v132, s18, v78
	v_fma_f16 v90, v136, s16, v90
	;; [unrolled: 1-line block ×3, first 2 shown]
	v_add_f16_e32 v136, v137, v141
	v_fma_f16 v65, v65, s16, v74
	v_add_f16_e32 v74, v70, v137
	v_fma_f16 v70, v136, -0.5, v70
	v_add_f16_e32 v74, v74, v139
	v_fma_f16 v136, v132, s17, v70
	v_fma_f16 v70, v132, s13, v70
	v_add_f16_e32 v132, v75, v86
	v_add_f16_e32 v74, v74, v140
	v_sub_f16_e32 v155, v139, v137
	v_sub_f16_e32 v156, v140, v141
	v_fma_f16 v132, v132, -0.5, v138
	v_sub_f16_e32 v137, v137, v141
	v_add_f16_e32 v74, v74, v141
	v_fma_f16 v136, v89, s12, v136
	v_add_f16_e32 v155, v155, v156
	v_fma_f16 v70, v89, s18, v70
	v_fma_f16 v141, v137, s17, v132
	v_sub_f16_e32 v139, v139, v140
	v_fma_f16 v136, v155, s16, v136
	v_fma_f16 v70, v155, s16, v70
	;; [unrolled: 1-line block ×3, first 2 shown]
	v_sub_f16_e32 v141, v82, v75
	v_sub_f16_e32 v155, v79, v86
	v_fma_f16 v132, v137, s13, v132
	v_add_f16_e32 v89, v138, v82
	v_add_f16_e32 v141, v141, v155
	v_fma_f16 v132, v139, s12, v132
	v_add_f16_e32 v89, v89, v75
	v_fma_f16 v140, v141, s16, v140
	v_fma_f16 v141, v141, s16, v132
	v_add_f16_e32 v132, v82, v79
	v_add_f16_e32 v89, v89, v86
	v_fma_f16 v132, v132, -0.5, v138
	v_add_f16_e32 v89, v89, v79
	v_fma_f16 v138, v139, s13, v132
	v_sub_f16_e32 v75, v75, v82
	v_sub_f16_e32 v79, v86, v79
	v_add_f16_e32 v86, v145, v146
	v_fma_f16 v138, v137, s18, v138
	v_add_f16_e32 v75, v75, v79
	v_fma_f16 v82, v139, s17, v132
	v_fma_f16 v86, v86, -0.5, v41
	v_sub_f16_e32 v132, v83, v143
	v_fma_f16 v79, v75, s16, v138
	v_fma_f16 v82, v137, s12, v82
	;; [unrolled: 1-line block ×3, first 2 shown]
	v_sub_f16_e32 v138, v49, v87
	v_sub_f16_e32 v139, v142, v145
	;; [unrolled: 1-line block ×3, first 2 shown]
	v_fma_f16 v86, v132, s17, v86
	v_fma_f16 v137, v138, s12, v137
	v_add_f16_e32 v139, v139, v155
	v_fma_f16 v86, v138, s18, v86
	v_fma_f16 v137, v139, s16, v137
	;; [unrolled: 1-line block ×3, first 2 shown]
	v_add_f16_e32 v139, v142, v147
	v_fma_f16 v75, v75, s16, v82
	v_add_f16_e32 v82, v41, v142
	v_fma_f16 v41, v139, -0.5, v41
	v_fma_f16 v139, v138, s17, v41
	v_fma_f16 v41, v138, s13, v41
	;; [unrolled: 1-line block ×4, first 2 shown]
	v_add_f16_e32 v132, v144, v83
	v_add_f16_e32 v132, v132, v49
	;; [unrolled: 1-line block ×7, first 2 shown]
	v_sub_f16_e32 v155, v145, v142
	v_sub_f16_e32 v156, v146, v147
	v_fma_f16 v132, v132, -0.5, v144
	v_sub_f16_e32 v142, v142, v147
	v_add_f16_e32 v82, v82, v147
	v_add_f16_e32 v155, v155, v156
	v_fma_f16 v147, v142, s17, v132
	v_sub_f16_e32 v145, v145, v146
	v_fma_f16 v139, v155, s16, v139
	v_fma_f16 v41, v155, s16, v41
	;; [unrolled: 1-line block ×3, first 2 shown]
	v_sub_f16_e32 v147, v83, v49
	v_sub_f16_e32 v155, v143, v87
	v_fma_f16 v132, v142, s13, v132
	v_add_f16_e32 v147, v147, v155
	v_fma_f16 v132, v145, s12, v132
	v_fma_f16 v146, v147, s16, v146
	;; [unrolled: 1-line block ×3, first 2 shown]
	v_add_f16_e32 v132, v83, v143
	v_fma_f16 v132, v132, -0.5, v144
	v_fma_f16 v144, v145, s13, v132
	v_sub_f16_e32 v49, v49, v83
	v_sub_f16_e32 v83, v87, v143
	v_fma_f16 v87, v145, s17, v132
	v_fma_f16 v144, v142, s18, v144
	v_add_f16_e32 v49, v49, v83
	v_fma_f16 v87, v142, s12, v87
	v_fma_f16 v83, v49, s16, v144
	;; [unrolled: 1-line block ×3, first 2 shown]
	v_pack_b32_f16 v87, v148, v151
	v_pack_b32_f16 v47, v152, v47
	;; [unrolled: 1-line block ×4, first 2 shown]
	ds_write2_b32 v91, v87, v47 offset1:55
	ds_write2_b32 v91, v45, v37 offset0:110 offset1:165
	v_pack_b32_f16 v37, v150, v149
	v_pack_b32_f16 v39, v42, v50
	ds_write2_b32 v71, v37, v39 offset0:92 offset1:147
	v_pack_b32_f16 v37, v51, v84
	v_pack_b32_f16 v39, v153, v54
	;; [unrolled: 3-line block ×3, first 2 shown]
	ds_write2_b32 v73, v37, v38 offset0:184 offset1:239
	v_mov_b32_e32 v37, 2
	v_lshlrev_b32_sdwa v132, v37, v76 dst_sel:DWORD dst_unused:UNUSED_PAD src0_sel:DWORD src1_sel:BYTE_0
	v_pack_b32_f16 v38, v55, v69
	v_pack_b32_f16 v39, v67, v133
	v_add_u32_e32 v42, 0x800, v132
	ds_write2_b32 v42, v38, v39 offset0:38 offset1:93
	v_pack_b32_f16 v38, v88, v68
	v_pack_b32_f16 v39, v64, v65
	ds_write2_b32 v42, v38, v39 offset0:148 offset1:203
	v_pack_b32_f16 v38, v61, v80
	v_lshlrev_b32_sdwa v133, v37, v134 dst_sel:DWORD dst_unused:UNUSED_PAD src0_sel:DWORD src1_sel:BYTE_0
	ds_write_b32 v132, v38 offset:3080
	v_pack_b32_f16 v37, v74, v89
	v_pack_b32_f16 v38, v90, v140
	v_add_u32_e32 v39, 0xc00, v133
	ds_write2_b32 v39, v37, v38 offset0:57 offset1:112
	v_pack_b32_f16 v37, v136, v79
	v_pack_b32_f16 v38, v70, v75
	ds_write2_b32 v39, v37, v38 offset0:167 offset1:222
	v_pack_b32_f16 v37, v78, v141
	v_lshlrev_b32_e32 v134, 2, v135
	ds_write_b32 v133, v37 offset:4180
	v_pack_b32_f16 v37, v82, v138
	v_pack_b32_f16 v38, v137, v146
	v_add_u32_e32 v39, 0x1000, v134
	ds_write2_b32 v39, v37, v38 offset0:76 offset1:131
	v_pack_b32_f16 v37, v139, v83
	v_pack_b32_f16 v38, v41, v49
	ds_write2_b32 v39, v37, v38 offset0:186 offset1:241
	v_pack_b32_f16 v37, v86, v147
	ds_write_b32 v134, v37 offset:5280
	s_waitcnt lgkmcnt(0)
	; wave barrier
	s_waitcnt lgkmcnt(0)
	global_load_dwordx4 v[36:39], v36, s[2:3] offset:1056
	s_nop 0
	global_load_dwordx4 v[40:43], v40, s[2:3] offset:1056
	s_nop 0
	global_load_dwordx4 v[44:47], v44, s[2:3] offset:1056
	ds_read2_b32 v[64:65], v91 offset1:55
	ds_read2_b32 v[67:68], v71 offset0:92 offset1:147
	ds_read2_b32 v[69:70], v72 offset0:38 offset1:93
	;; [unrolled: 1-line block ×5, first 2 shown]
	global_load_dwordx4 v[48:51], v48, s[2:3] offset:1056
	ds_read2_b32 v[86:87], v77 offset0:112 offset1:167
	global_load_dwordx4 v[52:55], v52, s[2:3] offset:1056
	s_waitcnt lgkmcnt(5)
	v_lshrrev_b32_e32 v76, 16, v68
	s_waitcnt lgkmcnt(4)
	v_lshrrev_b32_e32 v80, 16, v69
	;; [unrolled: 2-line block ×5, first 2 shown]
	v_lshrrev_b32_e32 v145, 16, v70
	s_waitcnt lgkmcnt(0)
	v_lshrrev_b32_e32 v146, 16, v86
	ds_read2_b32 v[135:136], v72 offset0:148 offset1:203
	v_lshrrev_b32_e32 v147, 16, v79
	v_lshrrev_b32_e32 v149, 16, v83
	ds_read2_b32 v[137:138], v85 offset0:186 offset1:241
	ds_read2_b32 v[139:140], v73 offset0:184 offset1:239
	s_waitcnt lgkmcnt(2)
	v_lshrrev_b32_e32 v150, 16, v135
	v_lshrrev_b32_e32 v151, 16, v87
	ds_read2_b32 v[141:142], v81 offset0:94 offset1:149
	s_waitcnt lgkmcnt(2)
	v_lshrrev_b32_e32 v152, 16, v137
	s_waitcnt lgkmcnt(1)
	v_lshrrev_b32_e32 v154, 16, v139
	v_lshrrev_b32_e32 v155, 16, v136
	;; [unrolled: 1-line block ×3, first 2 shown]
	s_waitcnt lgkmcnt(0)
	v_lshrrev_b32_e32 v156, 16, v141
	v_lshrrev_b32_e32 v160, 16, v140
	ds_read_b32 v158, v91 offset:5280
	v_lshrrev_b32_e32 v161, 16, v74
	v_lshrrev_b32_e32 v162, 16, v142
	;; [unrolled: 1-line block ×4, first 2 shown]
	s_waitcnt lgkmcnt(0)
	v_lshrrev_b32_e32 v163, 16, v158
	ds_read2_b32 v[88:89], v91 offset0:110 offset1:165
	v_lshrrev_b32_e32 v159, 16, v67
	s_movk_i32 s2, 0x1000
	s_waitcnt lgkmcnt(0)
	v_lshrrev_b32_e32 v148, 16, v88
	v_lshrrev_b32_e32 v153, 16, v89
	s_waitcnt vmcnt(4)
	v_mul_f16_sdwa v164, v76, v36 dst_sel:DWORD dst_unused:UNUSED_PAD src0_sel:DWORD src1_sel:WORD_1
	v_fma_f16 v164, v68, v36, -v164
	v_mul_f16_sdwa v68, v68, v36 dst_sel:DWORD dst_unused:UNUSED_PAD src0_sel:DWORD src1_sel:WORD_1
	v_fma_f16 v68, v76, v36, v68
	v_mul_f16_sdwa v76, v80, v37 dst_sel:DWORD dst_unused:UNUSED_PAD src0_sel:DWORD src1_sel:WORD_1
	v_fma_f16 v76, v69, v37, -v76
	v_mul_f16_sdwa v69, v69, v37 dst_sel:DWORD dst_unused:UNUSED_PAD src0_sel:DWORD src1_sel:WORD_1
	v_fma_f16 v69, v80, v37, v69
	v_mul_f16_sdwa v80, v84, v38 dst_sel:DWORD dst_unused:UNUSED_PAD src0_sel:DWORD src1_sel:WORD_1
	v_fma_f16 v80, v75, v38, -v80
	v_mul_f16_sdwa v75, v75, v38 dst_sel:DWORD dst_unused:UNUSED_PAD src0_sel:DWORD src1_sel:WORD_1
	v_fma_f16 v75, v84, v38, v75
	v_mul_f16_sdwa v84, v90, v39 dst_sel:DWORD dst_unused:UNUSED_PAD src0_sel:DWORD src1_sel:WORD_1
	v_fma_f16 v84, v78, v39, -v84
	v_mul_f16_sdwa v78, v78, v39 dst_sel:DWORD dst_unused:UNUSED_PAD src0_sel:DWORD src1_sel:WORD_1
	v_fma_f16 v78, v90, v39, v78
	s_waitcnt vmcnt(3)
	v_mul_f16_sdwa v90, v144, v40 dst_sel:DWORD dst_unused:UNUSED_PAD src0_sel:DWORD src1_sel:WORD_1
	v_fma_f16 v90, v82, v40, -v90
	v_mul_f16_sdwa v82, v82, v40 dst_sel:DWORD dst_unused:UNUSED_PAD src0_sel:DWORD src1_sel:WORD_1
	v_fma_f16 v82, v144, v40, v82
	v_mul_f16_sdwa v144, v145, v41 dst_sel:DWORD dst_unused:UNUSED_PAD src0_sel:DWORD src1_sel:WORD_1
	v_fma_f16 v144, v70, v41, -v144
	v_mul_f16_sdwa v70, v70, v41 dst_sel:DWORD dst_unused:UNUSED_PAD src0_sel:DWORD src1_sel:WORD_1
	v_fma_f16 v70, v145, v41, v70
	v_mul_f16_sdwa v145, v146, v42 dst_sel:DWORD dst_unused:UNUSED_PAD src0_sel:DWORD src1_sel:WORD_1
	v_fma_f16 v145, v86, v42, -v145
	v_mul_f16_sdwa v86, v86, v42 dst_sel:DWORD dst_unused:UNUSED_PAD src0_sel:DWORD src1_sel:WORD_1
	v_fma_f16 v86, v146, v42, v86
	v_mul_f16_sdwa v146, v147, v43 dst_sel:DWORD dst_unused:UNUSED_PAD src0_sel:DWORD src1_sel:WORD_1
	v_fma_f16 v146, v79, v43, -v146
	v_mul_f16_sdwa v79, v79, v43 dst_sel:DWORD dst_unused:UNUSED_PAD src0_sel:DWORD src1_sel:WORD_1
	v_fma_f16 v79, v147, v43, v79
	;; [unrolled: 17-line block ×4, first 2 shown]
	s_waitcnt vmcnt(0)
	v_mul_f16_sdwa v157, v160, v52 dst_sel:DWORD dst_unused:UNUSED_PAD src0_sel:DWORD src1_sel:WORD_1
	v_fma_f16 v157, v140, v52, -v157
	v_mul_f16_sdwa v140, v140, v52 dst_sel:DWORD dst_unused:UNUSED_PAD src0_sel:DWORD src1_sel:WORD_1
	v_fma_f16 v140, v160, v52, v140
	v_mul_f16_sdwa v160, v161, v53 dst_sel:DWORD dst_unused:UNUSED_PAD src0_sel:DWORD src1_sel:WORD_1
	v_fma_f16 v160, v74, v53, -v160
	v_mul_f16_sdwa v74, v74, v53 dst_sel:DWORD dst_unused:UNUSED_PAD src0_sel:DWORD src1_sel:WORD_1
	v_fma_f16 v74, v161, v53, v74
	v_mul_f16_sdwa v161, v162, v54 dst_sel:DWORD dst_unused:UNUSED_PAD src0_sel:DWORD src1_sel:WORD_1
	v_add_f16_e32 v165, v76, v80
	v_fma_f16 v161, v142, v54, -v161
	v_mul_f16_sdwa v142, v142, v54 dst_sel:DWORD dst_unused:UNUSED_PAD src0_sel:DWORD src1_sel:WORD_1
	v_fma_f16 v165, v165, -0.5, v64
	v_sub_f16_e32 v166, v68, v78
	v_fma_f16 v142, v162, v54, v142
	v_mul_f16_sdwa v162, v163, v55 dst_sel:DWORD dst_unused:UNUSED_PAD src0_sel:DWORD src1_sel:WORD_1
	v_fma_f16 v167, v166, s13, v165
	v_sub_f16_e32 v168, v69, v75
	v_sub_f16_e32 v169, v164, v76
	;; [unrolled: 1-line block ×3, first 2 shown]
	v_fma_f16 v165, v166, s17, v165
	v_fma_f16 v162, v158, v55, -v162
	v_mul_f16_sdwa v158, v158, v55 dst_sel:DWORD dst_unused:UNUSED_PAD src0_sel:DWORD src1_sel:WORD_1
	v_fma_f16 v167, v168, s12, v167
	v_add_f16_e32 v169, v169, v170
	v_fma_f16 v165, v168, s18, v165
	v_fma_f16 v158, v163, v55, v158
	v_add_f16_e32 v163, v64, v164
	v_fma_f16 v167, v169, s16, v167
	v_fma_f16 v165, v169, s16, v165
	v_add_f16_e32 v169, v164, v84
	v_add_f16_e32 v163, v163, v76
	v_fma_f16 v64, v169, -0.5, v64
	v_add_f16_e32 v163, v163, v80
	v_fma_f16 v169, v168, s17, v64
	v_fma_f16 v64, v168, s13, v64
	v_add_f16_e32 v168, v69, v75
	v_add_f16_e32 v163, v163, v84
	v_sub_f16_e32 v170, v76, v164
	v_sub_f16_e32 v171, v80, v84
	v_fma_f16 v168, v168, -0.5, v61
	v_sub_f16_e32 v84, v164, v84
	v_fma_f16 v169, v166, s12, v169
	v_add_f16_e32 v170, v170, v171
	v_fma_f16 v64, v166, s18, v64
	v_fma_f16 v164, v84, s17, v168
	v_sub_f16_e32 v76, v76, v80
	v_fma_f16 v169, v170, s16, v169
	v_fma_f16 v64, v170, s16, v64
	;; [unrolled: 1-line block ×3, first 2 shown]
	v_sub_f16_e32 v164, v68, v69
	v_sub_f16_e32 v170, v78, v75
	v_fma_f16 v168, v84, s13, v168
	v_add_f16_e32 v164, v164, v170
	v_fma_f16 v168, v76, s12, v168
	v_fma_f16 v80, v164, s16, v80
	;; [unrolled: 1-line block ×3, first 2 shown]
	v_add_f16_e32 v168, v68, v78
	v_add_f16_e32 v166, v61, v68
	v_fma_f16 v61, v168, -0.5, v61
	v_add_f16_e32 v166, v166, v69
	v_fma_f16 v168, v76, s13, v61
	v_sub_f16_e32 v68, v69, v68
	v_sub_f16_e32 v69, v75, v78
	v_fma_f16 v61, v76, s17, v61
	v_add_f16_e32 v68, v68, v69
	v_fma_f16 v61, v84, s12, v61
	v_add_f16_e32 v166, v166, v75
	;; [unrolled: 2-line block ×3, first 2 shown]
	v_add_f16_e32 v61, v61, v144
	v_add_f16_e32 v61, v61, v145
	v_fma_f16 v168, v84, s18, v168
	v_add_f16_e32 v76, v61, v146
	v_add_f16_e32 v61, v144, v145
	v_fma_f16 v69, v68, s16, v168
	v_fma_f16 v61, v61, -0.5, v65
	v_sub_f16_e32 v68, v82, v79
	v_add_f16_e32 v166, v166, v78
	v_fma_f16 v78, v68, s13, v61
	v_sub_f16_e32 v84, v70, v86
	v_sub_f16_e32 v168, v90, v144
	;; [unrolled: 1-line block ×3, first 2 shown]
	v_fma_f16 v61, v68, s17, v61
	v_fma_f16 v78, v84, s12, v78
	v_add_f16_e32 v168, v168, v170
	v_fma_f16 v61, v84, s18, v61
	v_fma_f16 v78, v168, s16, v78
	;; [unrolled: 1-line block ×3, first 2 shown]
	v_add_f16_e32 v61, v90, v146
	v_fma_f16 v61, v61, -0.5, v65
	v_fma_f16 v65, v84, s17, v61
	v_sub_f16_e32 v170, v144, v90
	v_sub_f16_e32 v171, v145, v146
	v_fma_f16 v61, v84, s13, v61
	v_add_f16_e32 v170, v170, v171
	v_fma_f16 v61, v68, s18, v61
	v_fma_f16 v84, v170, s16, v61
	v_add_f16_e32 v61, v143, v82
	v_add_f16_e32 v61, v61, v70
	v_fma_f16 v65, v68, s12, v65
	v_add_f16_e32 v61, v61, v86
	v_fma_f16 v65, v170, s16, v65
	v_add_f16_e32 v170, v61, v79
	v_add_f16_e32 v61, v70, v86
	v_fma_f16 v61, v61, -0.5, v143
	v_sub_f16_e32 v68, v90, v146
	v_fma_f16 v90, v68, s17, v61
	v_sub_f16_e32 v144, v144, v145
	v_sub_f16_e32 v145, v82, v70
	;; [unrolled: 1-line block ×3, first 2 shown]
	v_fma_f16 v61, v68, s13, v61
	v_fma_f16 v90, v144, s18, v90
	v_add_f16_e32 v145, v145, v146
	v_fma_f16 v61, v144, s12, v61
	v_fma_f16 v90, v145, s16, v90
	;; [unrolled: 1-line block ×3, first 2 shown]
	v_add_f16_e32 v61, v82, v79
	v_fma_f16 v61, v61, -0.5, v143
	v_fma_f16 v143, v144, s13, v61
	v_sub_f16_e32 v70, v70, v82
	v_sub_f16_e32 v79, v86, v79
	v_fma_f16 v61, v144, s17, v61
	v_fma_f16 v143, v68, s18, v143
	v_add_f16_e32 v70, v70, v79
	v_fma_f16 v61, v68, s12, v61
	v_fma_f16 v79, v70, s16, v143
	;; [unrolled: 1-line block ×3, first 2 shown]
	v_add_f16_e32 v61, v88, v147
	v_add_f16_e32 v61, v61, v149
	;; [unrolled: 1-line block ×5, first 2 shown]
	v_fma_f16 v61, v61, -0.5, v88
	v_sub_f16_e32 v68, v83, v137
	v_fma_f16 v86, v68, s13, v61
	v_sub_f16_e32 v143, v135, v87
	v_sub_f16_e32 v144, v147, v149
	;; [unrolled: 1-line block ×3, first 2 shown]
	v_fma_f16 v61, v68, s17, v61
	v_fma_f16 v86, v143, s12, v86
	v_add_f16_e32 v144, v144, v146
	v_fma_f16 v61, v143, s18, v61
	v_fma_f16 v86, v144, s16, v86
	;; [unrolled: 1-line block ×3, first 2 shown]
	v_add_f16_e32 v61, v147, v151
	v_fma_f16 v61, v61, -0.5, v88
	v_fma_f16 v88, v143, s17, v61
	v_sub_f16_e32 v146, v149, v147
	v_sub_f16_e32 v171, v150, v151
	v_fma_f16 v61, v143, s13, v61
	v_add_f16_e32 v146, v146, v171
	v_fma_f16 v61, v68, s18, v61
	v_fma_f16 v143, v146, s16, v61
	v_add_f16_e32 v61, v148, v83
	v_add_f16_e32 v61, v61, v135
	v_fma_f16 v88, v68, s12, v88
	v_add_f16_e32 v61, v61, v87
	v_fma_f16 v88, v146, s16, v88
	v_add_f16_e32 v146, v61, v137
	v_add_f16_e32 v61, v135, v87
	v_fma_f16 v61, v61, -0.5, v148
	v_sub_f16_e32 v68, v147, v151
	v_fma_f16 v147, v68, s17, v61
	v_sub_f16_e32 v149, v149, v150
	v_sub_f16_e32 v150, v83, v135
	;; [unrolled: 1-line block ×3, first 2 shown]
	v_fma_f16 v61, v68, s13, v61
	v_fma_f16 v147, v149, s18, v147
	v_add_f16_e32 v150, v150, v151
	v_fma_f16 v61, v149, s12, v61
	v_fma_f16 v147, v150, s16, v147
	v_fma_f16 v150, v150, s16, v61
	v_add_f16_e32 v61, v83, v137
	v_fma_f16 v61, v61, -0.5, v148
	v_fma_f16 v148, v149, s13, v61
	v_sub_f16_e32 v83, v135, v83
	v_sub_f16_e32 v87, v87, v137
	v_fma_f16 v61, v149, s17, v61
	v_fma_f16 v148, v68, s18, v148
	v_add_f16_e32 v83, v83, v87
	v_fma_f16 v61, v68, s12, v61
	v_fma_f16 v87, v83, s16, v148
	;; [unrolled: 1-line block ×3, first 2 shown]
	v_add_f16_e32 v61, v89, v152
	v_add_f16_e32 v61, v61, v154
	;; [unrolled: 1-line block ×5, first 2 shown]
	v_fma_f16 v61, v61, -0.5, v89
	v_sub_f16_e32 v68, v139, v138
	v_fma_f16 v135, v68, s13, v61
	v_sub_f16_e32 v137, v136, v141
	v_sub_f16_e32 v149, v152, v154
	;; [unrolled: 1-line block ×3, first 2 shown]
	v_fma_f16 v61, v68, s17, v61
	v_fma_f16 v135, v137, s12, v135
	v_add_f16_e32 v149, v149, v151
	v_fma_f16 v61, v137, s18, v61
	v_fma_f16 v151, v149, s16, v135
	;; [unrolled: 1-line block ×3, first 2 shown]
	v_add_f16_e32 v61, v152, v156
	v_fma_f16 v61, v61, -0.5, v89
	v_fma_f16 v89, v137, s17, v61
	v_sub_f16_e32 v135, v154, v152
	v_sub_f16_e32 v171, v155, v156
	v_fma_f16 v61, v137, s13, v61
	v_add_f16_e32 v135, v135, v171
	v_fma_f16 v61, v68, s18, v61
	v_fma_f16 v171, v135, s16, v61
	v_add_f16_e32 v61, v153, v139
	v_add_f16_e32 v61, v61, v136
	v_add_f16_e32 v61, v61, v141
	v_add_f16_e32 v172, v61, v138
	v_add_f16_e32 v61, v136, v141
	v_fma_f16 v89, v68, s12, v89
	v_fma_f16 v61, v61, -0.5, v153
	v_sub_f16_e32 v68, v152, v156
	v_fma_f16 v89, v135, s16, v89
	v_fma_f16 v135, v68, s17, v61
	v_sub_f16_e32 v137, v154, v155
	v_sub_f16_e32 v152, v139, v136
	;; [unrolled: 1-line block ×3, first 2 shown]
	v_fma_f16 v61, v68, s13, v61
	v_fma_f16 v135, v137, s18, v135
	v_add_f16_e32 v152, v152, v154
	v_fma_f16 v61, v137, s12, v61
	v_fma_f16 v154, v152, s16, v135
	;; [unrolled: 1-line block ×3, first 2 shown]
	v_add_f16_e32 v61, v139, v138
	v_fma_f16 v61, v61, -0.5, v153
	v_fma_f16 v135, v137, s13, v61
	v_sub_f16_e32 v136, v136, v139
	v_sub_f16_e32 v138, v141, v138
	v_fma_f16 v61, v137, s17, v61
	v_add_f16_e32 v136, v136, v138
	v_fma_f16 v61, v68, s12, v61
	v_fma_f16 v139, v136, s16, v61
	v_add_f16_e32 v61, v67, v157
	v_add_f16_e32 v61, v61, v160
	;; [unrolled: 1-line block ×5, first 2 shown]
	v_fma_f16 v135, v68, s18, v135
	v_fma_f16 v61, v61, -0.5, v67
	v_sub_f16_e32 v68, v140, v158
	v_fma_f16 v138, v136, s16, v135
	v_fma_f16 v135, v68, s13, v61
	v_sub_f16_e32 v136, v74, v142
	v_sub_f16_e32 v137, v157, v160
	;; [unrolled: 1-line block ×3, first 2 shown]
	v_fma_f16 v135, v136, s12, v135
	v_add_f16_e32 v137, v137, v153
	v_fma_f16 v153, v137, s16, v135
	v_add_f16_e32 v135, v157, v162
	v_fma_f16 v135, v135, -0.5, v67
	v_fma_f16 v67, v136, s17, v135
	v_fma_f16 v135, v136, s13, v135
	;; [unrolled: 1-line block ×5, first 2 shown]
	v_add_f16_e32 v135, v159, v140
	v_fma_f16 v61, v136, s18, v61
	v_add_f16_e32 v135, v135, v74
	v_fma_f16 v61, v137, s16, v61
	v_sub_f16_e32 v137, v160, v157
	v_sub_f16_e32 v155, v161, v162
	v_add_f16_e32 v135, v135, v142
	v_add_f16_e32 v137, v137, v155
	;; [unrolled: 1-line block ×4, first 2 shown]
	v_fma_f16 v67, v137, s16, v67
	v_fma_f16 v68, v137, s16, v68
	v_fma_f16 v135, v135, -0.5, v159
	v_sub_f16_e32 v137, v157, v162
	v_fma_f16 v136, v137, s17, v135
	v_sub_f16_e32 v156, v160, v161
	v_sub_f16_e32 v157, v140, v74
	v_sub_f16_e32 v160, v158, v142
	v_fma_f16 v135, v137, s13, v135
	v_fma_f16 v136, v156, s18, v136
	v_add_f16_e32 v157, v157, v160
	v_fma_f16 v135, v156, s12, v135
	v_fma_f16 v160, v157, s16, v136
	;; [unrolled: 1-line block ×3, first 2 shown]
	v_add_f16_e32 v135, v140, v158
	v_fma_f16 v157, v135, -0.5, v159
	v_sub_f16_e32 v74, v74, v140
	v_sub_f16_e32 v140, v142, v158
	v_fma_f16 v135, v156, s13, v157
	v_add_f16_e32 v74, v74, v140
	v_fma_f16 v140, v156, s17, v157
	v_pack_b32_f16 v64, v64, v75
	v_fma_f16 v135, v137, s18, v135
	v_fma_f16 v137, v137, s12, v140
	ds_write_b32 v91, v64 offset:3300
	v_pack_b32_f16 v64, v165, v164
	v_fma_f16 v135, v74, s16, v135
	v_fma_f16 v137, v74, s16, v137
	v_pack_b32_f16 v74, v163, v166
	v_pack_b32_f16 v80, v167, v80
	;; [unrolled: 1-line block ×3, first 2 shown]
	ds_write_b32 v91, v64 offset:4400
	v_pack_b32_f16 v64, v76, v170
	ds_write_b32 v91, v80 offset:1100
	ds_write_b32 v91, v69 offset:2200
	ds_write2_b32 v91, v74, v64 offset1:55
	v_pack_b32_f16 v64, v78, v90
	v_pack_b32_f16 v75, v86, v147
	;; [unrolled: 1-line block ×3, first 2 shown]
	ds_write2_b32 v73, v64, v75 offset0:74 offset1:129
	v_pack_b32_f16 v64, v88, v87
	v_pack_b32_f16 v69, v84, v70
	ds_write2_b32 v72, v65, v64 offset0:93 offset1:148
	v_pack_b32_f16 v64, v143, v83
	v_pack_b32_f16 v70, v168, v145
	;; [unrolled: 3-line block ×3, first 2 shown]
	ds_write2_b32 v85, v70, v64 offset0:131 offset1:186
	v_pack_b32_f16 v64, v148, v172
	ds_write2_b32 v91, v74, v64 offset0:110 offset1:165
	v_pack_b32_f16 v74, v141, v155
	v_pack_b32_f16 v64, v151, v154
	ds_write_b32 v91, v74 offset:880
	v_pack_b32_f16 v74, v153, v160
	v_pack_b32_f16 v65, v89, v138
	ds_write2_b32 v73, v64, v74 offset0:184 offset1:239
	v_pack_b32_f16 v64, v67, v135
	v_add_u32_e32 v74, 0xa00, v91
	v_pack_b32_f16 v69, v171, v139
	ds_write2_b32 v74, v65, v64 offset0:75 offset1:130
	v_pack_b32_f16 v64, v68, v137
	v_pack_b32_f16 v70, v149, v152
	ds_write2_b32 v81, v69, v64 offset0:94 offset1:149
	v_pack_b32_f16 v64, v61, v136
	v_add_u32_e32 v89, 0x1200, v91
	ds_write2_b32 v89, v70, v64 offset0:113 offset1:168
	s_waitcnt lgkmcnt(0)
	; wave barrier
	s_waitcnt lgkmcnt(0)
	global_load_dword v78, v91, s[4:5]
	global_load_dword v80, v91, s[4:5] offset:500
	global_load_dword v84, v91, s[4:5] offset:1000
	;; [unrolled: 1-line block ×8, first 2 shown]
	ds_read2_b32 v[75:76], v91 offset1:55
	v_mov_b32_e32 v64, s5
	v_add_co_u32_e64 v69, s[0:1], s4, v91
	v_addc_co_u32_e64 v70, s[0:1], 0, v64, s[0:1]
	v_add_co_u32_e64 v64, s[0:1], s2, v69
	s_waitcnt lgkmcnt(0)
	v_lshrrev_b32_e32 v79, 16, v75
	v_addc_co_u32_e64 v65, s[0:1], 0, v70, s[0:1]
	global_load_dword v152, v[64:65], off offset:404
	global_load_dword v153, v91, s[4:5] offset:1720
	global_load_dword v154, v91, s[4:5] offset:1220
	;; [unrolled: 1-line block ×4, first 2 shown]
	global_load_dword v157, v[64:65], off offset:904
	s_waitcnt vmcnt(14)
	v_mul_f16_sdwa v82, v79, v78 dst_sel:DWORD dst_unused:UNUSED_PAD src0_sel:DWORD src1_sel:WORD_1
	v_fma_f16 v82, v75, v78, -v82
	v_mul_f16_sdwa v75, v75, v78 dst_sel:DWORD dst_unused:UNUSED_PAD src0_sel:DWORD src1_sel:WORD_1
	v_fma_f16 v75, v79, v78, v75
	v_pack_b32_f16 v75, v82, v75
	ds_write_b32 v91, v75
	ds_read2_b32 v[78:79], v91 offset0:125 offset1:180
	ds_read2_b32 v[82:83], v71 offset0:122 offset1:177
	s_waitcnt lgkmcnt(1)
	v_lshrrev_b32_e32 v75, 16, v78
	s_waitcnt vmcnt(13)
	v_mul_f16_sdwa v86, v75, v80 dst_sel:DWORD dst_unused:UNUSED_PAD src0_sel:DWORD src1_sel:WORD_1
	v_fma_f16 v86, v78, v80, -v86
	v_mul_f16_sdwa v78, v78, v80 dst_sel:DWORD dst_unused:UNUSED_PAD src0_sel:DWORD src1_sel:WORD_1
	v_fma_f16 v75, v75, v80, v78
	v_pack_b32_f16 v78, v86, v75
	ds_read2_b32 v[86:87], v73 offset0:119 offset1:174
	s_waitcnt lgkmcnt(1)
	v_lshrrev_b32_e32 v75, 16, v82
	s_waitcnt vmcnt(12)
	v_mul_f16_sdwa v80, v75, v84 dst_sel:DWORD dst_unused:UNUSED_PAD src0_sel:DWORD src1_sel:WORD_1
	v_fma_f16 v80, v82, v84, -v80
	v_mul_f16_sdwa v82, v82, v84 dst_sel:DWORD dst_unused:UNUSED_PAD src0_sel:DWORD src1_sel:WORD_1
	v_fma_f16 v75, v75, v84, v82
	s_waitcnt lgkmcnt(0)
	v_lshrrev_b32_e32 v82, 16, v86
	v_pack_b32_f16 v80, v80, v75
	s_waitcnt vmcnt(11)
	v_mul_f16_sdwa v84, v82, v88 dst_sel:DWORD dst_unused:UNUSED_PAD src0_sel:DWORD src1_sel:WORD_1
	v_add_u32_e32 v75, 0x600, v91
	ds_read2_b32 v[138:139], v75 offset0:116 offset1:171
	v_fma_f16 v84, v86, v88, -v84
	v_mul_f16_sdwa v86, v86, v88 dst_sel:DWORD dst_unused:UNUSED_PAD src0_sel:DWORD src1_sel:WORD_1
	v_fma_f16 v82, v82, v88, v86
	global_load_dword v86, v91, s[4:5] offset:3720
	global_load_dword v88, v91, s[4:5] offset:3220
	;; [unrolled: 1-line block ×4, first 2 shown]
	v_pack_b32_f16 v82, v84, v82
	s_waitcnt lgkmcnt(0)
	v_lshrrev_b32_e32 v84, 16, v138
	ds_read2_b32 v[140:141], v72 offset0:113 offset1:168
	s_waitcnt vmcnt(14)
	v_mul_f16_sdwa v142, v84, v90 dst_sel:DWORD dst_unused:UNUSED_PAD src0_sel:DWORD src1_sel:WORD_1
	v_fma_f16 v142, v138, v90, -v142
	v_mul_f16_sdwa v138, v138, v90 dst_sel:DWORD dst_unused:UNUSED_PAD src0_sel:DWORD src1_sel:WORD_1
	v_fma_f16 v84, v84, v90, v138
	v_pack_b32_f16 v84, v142, v84
	ds_read2_b32 v[142:143], v74 offset0:110 offset1:165
	s_waitcnt lgkmcnt(1)
	v_lshrrev_b32_e32 v90, 16, v140
	s_waitcnt vmcnt(13)
	v_mul_f16_sdwa v138, v90, v144 dst_sel:DWORD dst_unused:UNUSED_PAD src0_sel:DWORD src1_sel:WORD_1
	v_fma_f16 v138, v140, v144, -v138
	v_mul_f16_sdwa v140, v140, v144 dst_sel:DWORD dst_unused:UNUSED_PAD src0_sel:DWORD src1_sel:WORD_1
	v_fma_f16 v90, v90, v144, v140
	v_pack_b32_f16 v90, v138, v90
	s_waitcnt lgkmcnt(0)
	v_lshrrev_b32_e32 v138, 16, v142
	s_waitcnt vmcnt(12)
	v_mul_f16_sdwa v140, v138, v146 dst_sel:DWORD dst_unused:UNUSED_PAD src0_sel:DWORD src1_sel:WORD_1
	v_fma_f16 v140, v142, v146, -v140
	v_mul_f16_sdwa v142, v142, v146 dst_sel:DWORD dst_unused:UNUSED_PAD src0_sel:DWORD src1_sel:WORD_1
	ds_read2_b32 v[144:145], v77 offset0:107 offset1:162
	v_fma_f16 v138, v138, v146, v142
	ds_read2_b32 v[146:147], v81 offset0:104 offset1:159
	global_load_dword v160, v[64:65], off offset:1124
	global_load_dword v161, v[64:65], off offset:624
	;; [unrolled: 1-line block ×3, first 2 shown]
	v_pack_b32_f16 v138, v140, v138
	s_waitcnt lgkmcnt(1)
	v_lshrrev_b32_e32 v140, 16, v144
	s_waitcnt vmcnt(14)
	v_mul_f16_sdwa v142, v140, v148 dst_sel:DWORD dst_unused:UNUSED_PAD src0_sel:DWORD src1_sel:WORD_1
	v_fma_f16 v142, v144, v148, -v142
	v_mul_f16_sdwa v144, v144, v148 dst_sel:DWORD dst_unused:UNUSED_PAD src0_sel:DWORD src1_sel:WORD_1
	v_fma_f16 v140, v140, v148, v144
	ds_read2_b32 v[148:149], v85 offset0:101 offset1:156
	v_pack_b32_f16 v140, v142, v140
	s_waitcnt lgkmcnt(1)
	v_lshrrev_b32_e32 v142, 16, v146
	s_waitcnt vmcnt(13)
	v_mul_f16_sdwa v144, v142, v150 dst_sel:DWORD dst_unused:UNUSED_PAD src0_sel:DWORD src1_sel:WORD_1
	v_fma_f16 v144, v146, v150, -v144
	v_mul_f16_sdwa v146, v146, v150 dst_sel:DWORD dst_unused:UNUSED_PAD src0_sel:DWORD src1_sel:WORD_1
	v_fma_f16 v142, v142, v150, v146
	ds_read2_b32 v[150:151], v89 offset0:98 offset1:153
	v_pack_b32_f16 v142, v144, v142
	s_waitcnt lgkmcnt(1)
	v_lshrrev_b32_e32 v144, 16, v148
	s_waitcnt vmcnt(12)
	v_mul_f16_sdwa v146, v144, v152 dst_sel:DWORD dst_unused:UNUSED_PAD src0_sel:DWORD src1_sel:WORD_1
	v_fma_f16 v146, v148, v152, -v146
	v_mul_f16_sdwa v148, v148, v152 dst_sel:DWORD dst_unused:UNUSED_PAD src0_sel:DWORD src1_sel:WORD_1
	v_fma_f16 v144, v144, v152, v148
	v_pack_b32_f16 v144, v146, v144
	s_waitcnt lgkmcnt(0)
	v_lshrrev_b32_e32 v146, 16, v150
	s_waitcnt vmcnt(7)
	v_mul_f16_sdwa v148, v146, v157 dst_sel:DWORD dst_unused:UNUSED_PAD src0_sel:DWORD src1_sel:WORD_1
	v_fma_f16 v148, v150, v157, -v148
	v_mul_f16_sdwa v150, v150, v157 dst_sel:DWORD dst_unused:UNUSED_PAD src0_sel:DWORD src1_sel:WORD_1
	v_fma_f16 v146, v146, v157, v150
	v_pack_b32_f16 v146, v148, v146
	v_lshrrev_b32_e32 v148, 16, v76
	v_mul_f16_sdwa v150, v148, v156 dst_sel:DWORD dst_unused:UNUSED_PAD src0_sel:DWORD src1_sel:WORD_1
	v_fma_f16 v150, v76, v156, -v150
	v_mul_f16_sdwa v76, v76, v156 dst_sel:DWORD dst_unused:UNUSED_PAD src0_sel:DWORD src1_sel:WORD_1
	v_fma_f16 v76, v148, v156, v76
	v_pack_b32_f16 v76, v150, v76
	ds_write2_b32 v91, v76, v78 offset0:55 offset1:125
	v_lshrrev_b32_e32 v76, 16, v79
	v_mul_f16_sdwa v78, v76, v155 dst_sel:DWORD dst_unused:UNUSED_PAD src0_sel:DWORD src1_sel:WORD_1
	v_fma_f16 v78, v79, v155, -v78
	v_mul_f16_sdwa v79, v79, v155 dst_sel:DWORD dst_unused:UNUSED_PAD src0_sel:DWORD src1_sel:WORD_1
	v_fma_f16 v76, v76, v155, v79
	v_pack_b32_f16 v76, v78, v76
	ds_write2_b32 v91, v76, v80 offset0:180 offset1:250
	v_lshrrev_b32_e32 v76, 16, v83
	v_mul_f16_sdwa v78, v76, v154 dst_sel:DWORD dst_unused:UNUSED_PAD src0_sel:DWORD src1_sel:WORD_1
	v_mul_f16_sdwa v79, v83, v154 dst_sel:DWORD dst_unused:UNUSED_PAD src0_sel:DWORD src1_sel:WORD_1
	v_fma_f16 v78, v83, v154, -v78
	v_fma_f16 v76, v76, v154, v79
	v_pack_b32_f16 v76, v78, v76
	ds_write2_b32 v73, v76, v82 offset0:49 offset1:119
	v_lshrrev_b32_e32 v76, 16, v87
	v_mul_f16_sdwa v78, v76, v153 dst_sel:DWORD dst_unused:UNUSED_PAD src0_sel:DWORD src1_sel:WORD_1
	v_mul_f16_sdwa v79, v87, v153 dst_sel:DWORD dst_unused:UNUSED_PAD src0_sel:DWORD src1_sel:WORD_1
	v_fma_f16 v78, v87, v153, -v78
	v_fma_f16 v76, v76, v153, v79
	v_pack_b32_f16 v76, v78, v76
	ds_write2_b32 v73, v76, v84 offset0:174 offset1:244
	v_lshrrev_b32_e32 v76, 16, v139
	s_waitcnt vmcnt(3)
	v_mul_f16_sdwa v78, v76, v159 dst_sel:DWORD dst_unused:UNUSED_PAD src0_sel:DWORD src1_sel:WORD_1
	v_mul_f16_sdwa v79, v139, v159 dst_sel:DWORD dst_unused:UNUSED_PAD src0_sel:DWORD src1_sel:WORD_1
	v_fma_f16 v78, v139, v159, -v78
	v_fma_f16 v76, v76, v159, v79
	v_pack_b32_f16 v76, v78, v76
	ds_write2_b32 v72, v76, v90 offset0:43 offset1:113
	v_lshrrev_b32_e32 v76, 16, v141
	v_mul_f16_sdwa v78, v76, v158 dst_sel:DWORD dst_unused:UNUSED_PAD src0_sel:DWORD src1_sel:WORD_1
	v_mul_f16_sdwa v79, v141, v158 dst_sel:DWORD dst_unused:UNUSED_PAD src0_sel:DWORD src1_sel:WORD_1
	v_fma_f16 v78, v141, v158, -v78
	v_fma_f16 v76, v76, v158, v79
	v_pack_b32_f16 v76, v78, v76
	ds_write2_b32 v72, v76, v138 offset0:168 offset1:238
	v_lshrrev_b32_e32 v76, 16, v143
	;; [unrolled: 7-line block ×4, first 2 shown]
	s_waitcnt vmcnt(0)
	v_mul_f16_sdwa v78, v76, v162 dst_sel:DWORD dst_unused:UNUSED_PAD src0_sel:DWORD src1_sel:WORD_1
	v_mul_f16_sdwa v79, v147, v162 dst_sel:DWORD dst_unused:UNUSED_PAD src0_sel:DWORD src1_sel:WORD_1
	v_fma_f16 v78, v147, v162, -v78
	v_fma_f16 v76, v76, v162, v79
	v_pack_b32_f16 v76, v78, v76
	ds_write2_b32 v85, v76, v144 offset0:31 offset1:101
	v_lshrrev_b32_e32 v76, 16, v149
	v_mul_f16_sdwa v78, v76, v161 dst_sel:DWORD dst_unused:UNUSED_PAD src0_sel:DWORD src1_sel:WORD_1
	v_mul_f16_sdwa v79, v149, v161 dst_sel:DWORD dst_unused:UNUSED_PAD src0_sel:DWORD src1_sel:WORD_1
	v_fma_f16 v78, v149, v161, -v78
	v_fma_f16 v76, v76, v161, v79
	v_pack_b32_f16 v76, v78, v76
	ds_write2_b32 v85, v76, v146 offset0:156 offset1:226
	v_lshrrev_b32_e32 v76, 16, v151
	v_mul_f16_sdwa v78, v76, v160 dst_sel:DWORD dst_unused:UNUSED_PAD src0_sel:DWORD src1_sel:WORD_1
	v_mul_f16_sdwa v79, v151, v160 dst_sel:DWORD dst_unused:UNUSED_PAD src0_sel:DWORD src1_sel:WORD_1
	v_fma_f16 v78, v151, v160, -v78
	v_fma_f16 v76, v76, v160, v79
	v_pack_b32_f16 v76, v78, v76
	ds_write_b32 v91, v76 offset:5220
	s_and_saveexec_b64 s[0:1], vcc
	s_cbranch_execz .LBB0_9
; %bb.8:
	global_load_dword v76, v[69:70], off offset:440
	global_load_dword v78, v[69:70], off offset:940
	;; [unrolled: 1-line block ×9, first 2 shown]
	v_mov_b32_e32 v69, 0x1540
	global_load_dword v139, v[64:65], off offset:844
	v_lshl_or_b32 v64, v92, 2, v69
	global_load_dword v140, v64, s[4:5]
	ds_read2_b32 v[64:65], v91 offset0:110 offset1:235
	s_waitcnt lgkmcnt(0)
	v_lshrrev_b32_e32 v69, 16, v64
	v_lshrrev_b32_e32 v70, 16, v65
	s_waitcnt vmcnt(10)
	v_mul_f16_sdwa v79, v69, v76 dst_sel:DWORD dst_unused:UNUSED_PAD src0_sel:DWORD src1_sel:WORD_1
	v_mul_f16_sdwa v82, v64, v76 dst_sel:DWORD dst_unused:UNUSED_PAD src0_sel:DWORD src1_sel:WORD_1
	s_waitcnt vmcnt(9)
	v_mul_f16_sdwa v83, v70, v78 dst_sel:DWORD dst_unused:UNUSED_PAD src0_sel:DWORD src1_sel:WORD_1
	v_mul_f16_sdwa v141, v65, v78 dst_sel:DWORD dst_unused:UNUSED_PAD src0_sel:DWORD src1_sel:WORD_1
	v_fma_f16 v64, v64, v76, -v79
	v_fma_f16 v69, v69, v76, v82
	v_fma_f16 v65, v65, v78, -v83
	v_fma_f16 v70, v70, v78, v141
	v_pack_b32_f16 v64, v64, v69
	v_pack_b32_f16 v65, v65, v70
	ds_write2_b32 v91, v64, v65 offset0:110 offset1:235
	ds_read2_b32 v[64:65], v73 offset0:104 offset1:229
	ds_read2_b32 v[69:70], v72 offset0:98 offset1:223
	;; [unrolled: 1-line block ×4, first 2 shown]
	ds_read_b32 v76, v91 offset:5440
	s_waitcnt lgkmcnt(4)
	v_lshrrev_b32_e32 v141, 16, v64
	s_waitcnt vmcnt(8)
	v_mul_f16_sdwa v142, v64, v80 dst_sel:DWORD dst_unused:UNUSED_PAD src0_sel:DWORD src1_sel:WORD_1
	v_lshrrev_b32_e32 v143, 16, v65
	s_waitcnt vmcnt(7)
	v_mul_f16_sdwa v144, v65, v84 dst_sel:DWORD dst_unused:UNUSED_PAD src0_sel:DWORD src1_sel:WORD_1
	s_waitcnt lgkmcnt(3)
	v_lshrrev_b32_e32 v145, 16, v69
	s_waitcnt vmcnt(6)
	v_mul_f16_sdwa v146, v69, v86 dst_sel:DWORD dst_unused:UNUSED_PAD src0_sel:DWORD src1_sel:WORD_1
	v_lshrrev_b32_e32 v147, 16, v70
	s_waitcnt vmcnt(5)
	v_mul_f16_sdwa v148, v70, v87 dst_sel:DWORD dst_unused:UNUSED_PAD src0_sel:DWORD src1_sel:WORD_1
	;; [unrolled: 7-line block ×4, first 2 shown]
	s_waitcnt lgkmcnt(0)
	v_lshrrev_b32_e32 v157, 16, v76
	v_mul_f16_sdwa v159, v141, v80 dst_sel:DWORD dst_unused:UNUSED_PAD src0_sel:DWORD src1_sel:WORD_1
	v_fma_f16 v141, v141, v80, v142
	v_mul_f16_sdwa v142, v143, v84 dst_sel:DWORD dst_unused:UNUSED_PAD src0_sel:DWORD src1_sel:WORD_1
	s_waitcnt vmcnt(0)
	v_mul_f16_sdwa v158, v76, v140 dst_sel:DWORD dst_unused:UNUSED_PAD src0_sel:DWORD src1_sel:WORD_1
	v_fma_f16 v143, v143, v84, v144
	v_mul_f16_sdwa v144, v145, v86 dst_sel:DWORD dst_unused:UNUSED_PAD src0_sel:DWORD src1_sel:WORD_1
	v_fma_f16 v145, v145, v86, v146
	;; [unrolled: 2-line block ×7, first 2 shown]
	v_mul_f16_sdwa v156, v157, v140 dst_sel:DWORD dst_unused:UNUSED_PAD src0_sel:DWORD src1_sel:WORD_1
	v_fma_f16 v64, v64, v80, -v159
	v_fma_f16 v65, v65, v84, -v142
	v_fma_f16 v157, v157, v140, v158
	v_fma_f16 v69, v69, v86, -v144
	v_fma_f16 v70, v70, v87, -v146
	;; [unrolled: 1-line block ×7, first 2 shown]
	v_pack_b32_f16 v64, v64, v141
	v_pack_b32_f16 v65, v65, v143
	;; [unrolled: 1-line block ×9, first 2 shown]
	ds_write2_b32 v73, v64, v65 offset0:104 offset1:229
	ds_write2_b32 v72, v69, v70 offset0:98 offset1:223
	ds_write2_b32 v77, v78, v79 offset0:92 offset1:217
	ds_write2_b32 v85, v80, v82 offset0:86 offset1:211
	ds_write_b32 v91, v76 offset:5440
.LBB0_9:
	s_or_b64 exec, exec, s[0:1]
	s_waitcnt lgkmcnt(0)
	; wave barrier
	s_waitcnt lgkmcnt(0)
	ds_read2_b32 v[69:70], v91 offset1:55
	ds_read2_b32 v[87:88], v91 offset0:125 offset1:180
	ds_read2_b32 v[83:84], v71 offset0:122 offset1:177
	;; [unrolled: 1-line block ×10, first 2 shown]
	v_lshrrev_b32_e32 v65, 16, v125
	s_and_saveexec_b64 s[0:1], vcc
	s_cbranch_execz .LBB0_11
; %bb.10:
	v_add_u32_e32 v59, 0x400, v91
	ds_read2_b32 v[61:62], v59 offset0:104 offset1:229
	v_add_u32_e32 v59, 0x800, v91
	ds_read2_b32 v[63:64], v59 offset0:98 offset1:223
	;; [unrolled: 2-line block ×4, first 2 shown]
	ds_read2_b32 v[59:60], v59 offset0:86 offset1:211
	ds_read_b32 v121, v91 offset:5440
	s_mov_b32 s2, 0xffff
	s_waitcnt lgkmcnt(5)
	v_lshrrev_b32_e32 v136, 16, v61
	s_waitcnt lgkmcnt(2)
	v_lshrrev_b32_e32 v135, 16, v67
	v_lshrrev_b32_e32 v137, 16, v68
	;; [unrolled: 1-line block ×7, first 2 shown]
	s_waitcnt lgkmcnt(1)
	v_lshrrev_b32_e32 v122, 16, v59
	v_lshrrev_b32_e32 v120, 16, v60
	s_waitcnt lgkmcnt(0)
	v_bfi_b32 v124, s2, v64, v121
.LBB0_11:
	s_or_b64 exec, exec, s[0:1]
	s_waitcnt lgkmcnt(9)
	v_pk_add_f16 v64, v69, v87
	s_waitcnt lgkmcnt(8)
	v_pk_add_f16 v64, v64, v83
	;; [unrolled: 2-line block ×10, first 2 shown]
	v_pk_add_f16 v87, v87, v89 neg_lo:[0,1] neg_hi:[0,1]
	s_mov_b32 s4, 0xb853
	v_pk_add_f16 v64, v64, v89
	v_pk_mul_f16 v89, v87, s4 op_sel_hi:[1,0]
	s_movk_i32 s2, 0x3abb
	s_mov_b32 s5, 0xbb47
	v_pk_add_f16 v154, v85, v83
	v_pk_add_f16 v83, v83, v85 neg_lo:[0,1] neg_hi:[0,1]
	v_pk_fma_f16 v140, v139, s2, v89 op_sel:[0,0,1] op_sel_hi:[1,0,0]
	v_pk_fma_f16 v89, v139, s2, v89 op_sel:[0,0,1] op_sel_hi:[1,0,0] neg_lo:[0,0,1] neg_hi:[0,0,1]
	s_mov_b32 s0, 0xffff
	s_movk_i32 s3, 0x36a6
	v_pk_mul_f16 v85, v83, s5 op_sel_hi:[1,0]
	v_bfi_b32 v141, s0, v140, v89
	v_pk_fma_f16 v155, v154, s3, v85 op_sel:[0,0,1] op_sel_hi:[1,0,0]
	v_pk_fma_f16 v85, v154, s3, v85 op_sel:[0,0,1] op_sel_hi:[1,0,0] neg_lo:[0,0,1] neg_hi:[0,0,1]
	v_pk_add_f16 v141, v69, v141
	v_mul_f16_sdwa v142, v87, s5 dst_sel:DWORD dst_unused:UNUSED_PAD src0_sel:WORD_1 src1_sel:DWORD
	s_mov_b32 s17, 0xba0c
	v_bfi_b32 v156, s0, v155, v85
	v_fma_f16 v143, v139, s3, v142
	s_mov_b32 s16, 0xb93d
	v_pk_add_f16 v141, v156, v141
	v_mul_f16_sdwa v156, v83, s17 dst_sel:DWORD dst_unused:UNUSED_PAD src0_sel:WORD_1 src1_sel:DWORD
	v_add_f16_e32 v143, v69, v143
	v_mul_f16_sdwa v144, v139, s3 dst_sel:DWORD dst_unused:UNUSED_PAD src0_sel:WORD_1 src1_sel:DWORD
	s_movk_i32 s20, 0x3b47
	v_fma_f16 v142, v139, s3, -v142
	v_fma_f16 v157, v154, s16, v156
	v_fma_f16 v145, v87, s20, v144
	v_add_f16_e32 v142, v69, v142
	v_fma_f16 v144, v87, s5, v144
	s_mov_b32 s13, 0xbbeb
	v_add_f16_e32 v143, v157, v143
	v_mul_f16_sdwa v157, v154, s16 dst_sel:DWORD dst_unused:UNUSED_PAD src0_sel:WORD_1 src1_sel:DWORD
	v_fma_f16 v156, v154, s16, -v156
	v_add_f16_sdwa v144, v69, v144 dst_sel:DWORD dst_unused:UNUSED_PAD src0_sel:WORD_1 src1_sel:DWORD
	v_mul_f16_sdwa v146, v87, s13 dst_sel:DWORD dst_unused:UNUSED_PAD src0_sel:WORD_1 src1_sel:DWORD
	s_mov_b32 s12, 0xb08e
	v_add_f16_e32 v142, v156, v142
	v_fma_f16 v156, v83, s17, v157
	s_movk_i32 s22, 0x3482
	v_fma_f16 v147, v139, s12, v146
	s_movk_i32 s24, 0x3a0c
	v_add_f16_e32 v144, v156, v144
	v_mul_f16_sdwa v156, v83, s22 dst_sel:DWORD dst_unused:UNUSED_PAD src0_sel:WORD_1 src1_sel:DWORD
	s_mov_b32 s19, 0xbbad
	v_add_f16_e32 v147, v69, v147
	v_mul_f16_sdwa v148, v139, s12 dst_sel:DWORD dst_unused:UNUSED_PAD src0_sel:WORD_1 src1_sel:DWORD
	s_movk_i32 s18, 0x3beb
	v_fma_f16 v146, v139, s12, -v146
	v_fma_f16 v158, v83, s24, v157
	v_fma_f16 v157, v154, s19, v156
	;; [unrolled: 1-line block ×3, first 2 shown]
	v_add_f16_e32 v146, v69, v146
	v_fma_f16 v148, v87, s13, v148
	v_add_f16_e32 v147, v157, v147
	v_mul_f16_sdwa v157, v154, s19 dst_sel:DWORD dst_unused:UNUSED_PAD src0_sel:WORD_1 src1_sel:DWORD
	v_fma_f16 v156, v154, s19, -v156
	v_add_f16_sdwa v148, v69, v148 dst_sel:DWORD dst_unused:UNUSED_PAD src0_sel:WORD_1 src1_sel:DWORD
	v_mul_f16_sdwa v150, v87, s17 dst_sel:DWORD dst_unused:UNUSED_PAD src0_sel:WORD_1 src1_sel:DWORD
	v_add_f16_e32 v146, v156, v146
	v_fma_f16 v156, v83, s22, v157
	v_add_f16_sdwa v145, v69, v145 dst_sel:DWORD dst_unused:UNUSED_PAD src0_sel:WORD_1 src1_sel:DWORD
	v_fma_f16 v151, v139, s16, v150
	s_mov_b32 s21, 0xb482
	v_add_f16_e32 v148, v156, v148
	v_mul_f16_sdwa v156, v83, s18 dst_sel:DWORD dst_unused:UNUSED_PAD src0_sel:WORD_1 src1_sel:DWORD
	v_add_f16_e32 v151, v69, v151
	v_mul_f16_sdwa v152, v139, s16 dst_sel:DWORD dst_unused:UNUSED_PAD src0_sel:WORD_1 src1_sel:DWORD
	v_fma_f16 v150, v139, s16, -v150
	v_add_f16_e32 v145, v158, v145
	v_fma_f16 v158, v83, s21, v157
	v_fma_f16 v157, v154, s12, v156
	;; [unrolled: 1-line block ×3, first 2 shown]
	v_add_f16_e32 v150, v69, v150
	v_fma_f16 v152, v87, s17, v152
	v_add_f16_e32 v151, v157, v151
	v_mul_f16_sdwa v157, v154, s12 dst_sel:DWORD dst_unused:UNUSED_PAD src0_sel:WORD_1 src1_sel:DWORD
	v_fma_f16 v156, v154, s12, -v156
	v_add_f16_sdwa v152, v69, v152 dst_sel:DWORD dst_unused:UNUSED_PAD src0_sel:WORD_1 src1_sel:DWORD
	v_add_f16_e32 v150, v156, v150
	v_fma_f16 v156, v83, s18, v157
	v_add_f16_e32 v152, v156, v152
	v_pk_add_f16 v156, v81, v79
	v_pk_add_f16 v79, v79, v81 neg_lo:[0,1] neg_hi:[0,1]
	v_add_f16_sdwa v149, v69, v149 dst_sel:DWORD dst_unused:UNUSED_PAD src0_sel:WORD_1 src1_sel:DWORD
	v_pk_mul_f16 v81, v79, s13 op_sel_hi:[1,0]
	v_add_f16_sdwa v153, v69, v153 dst_sel:DWORD dst_unused:UNUSED_PAD src0_sel:WORD_1 src1_sel:DWORD
	v_add_f16_e32 v149, v158, v149
	v_fma_f16 v158, v83, s13, v157
	v_pk_fma_f16 v157, v156, s12, v81 op_sel:[0,0,1] op_sel_hi:[1,0,0]
	v_pk_fma_f16 v81, v156, s12, v81 op_sel:[0,0,1] op_sel_hi:[1,0,0] neg_lo:[0,0,1] neg_hi:[0,0,1]
	v_add_f16_e32 v153, v158, v153
	v_bfi_b32 v158, s0, v157, v81
	v_pk_add_f16 v141, v158, v141
	v_mul_f16_sdwa v158, v79, s22 dst_sel:DWORD dst_unused:UNUSED_PAD src0_sel:WORD_1 src1_sel:DWORD
	v_fma_f16 v159, v156, s19, v158
	v_add_f16_e32 v143, v159, v143
	v_mul_f16_sdwa v159, v156, s19 dst_sel:DWORD dst_unused:UNUSED_PAD src0_sel:WORD_1 src1_sel:DWORD
	v_fma_f16 v158, v156, s19, -v158
	v_add_f16_e32 v142, v158, v142
	v_fma_f16 v158, v79, s22, v159
	v_add_f16_e32 v144, v158, v144
	v_mul_f16_sdwa v158, v79, s20 dst_sel:DWORD dst_unused:UNUSED_PAD src0_sel:WORD_1 src1_sel:DWORD
	v_fma_f16 v160, v79, s21, v159
	v_fma_f16 v159, v156, s3, v158
	v_add_f16_e32 v147, v159, v147
	v_mul_f16_sdwa v159, v156, s3 dst_sel:DWORD dst_unused:UNUSED_PAD src0_sel:WORD_1 src1_sel:DWORD
	v_fma_f16 v158, v156, s3, -v158
	v_add_f16_e32 v146, v158, v146
	v_fma_f16 v158, v79, s20, v159
	v_add_f16_e32 v148, v158, v148
	v_mul_f16_sdwa v158, v79, s4 dst_sel:DWORD dst_unused:UNUSED_PAD src0_sel:WORD_1 src1_sel:DWORD
	v_add_f16_e32 v145, v160, v145
	v_fma_f16 v160, v79, s5, v159
	v_fma_f16 v159, v156, s2, v158
	v_add_f16_e32 v151, v159, v151
	v_mul_f16_sdwa v159, v156, s2 dst_sel:DWORD dst_unused:UNUSED_PAD src0_sel:WORD_1 src1_sel:DWORD
	v_fma_f16 v158, v156, s2, -v158
	v_add_f16_e32 v150, v158, v150
	v_fma_f16 v158, v79, s4, v159
	v_add_f16_e32 v152, v158, v152
	v_pk_add_f16 v158, v77, v75
	v_pk_add_f16 v75, v75, v77 neg_lo:[0,1] neg_hi:[0,1]
	s_movk_i32 s23, 0x3853
	v_pk_mul_f16 v77, v75, s17 op_sel_hi:[1,0]
	v_add_f16_e32 v149, v160, v149
	v_fma_f16 v160, v79, s23, v159
	v_pk_fma_f16 v159, v158, s16, v77 op_sel:[0,0,1] op_sel_hi:[1,0,0]
	v_pk_fma_f16 v77, v158, s16, v77 op_sel:[0,0,1] op_sel_hi:[1,0,0] neg_lo:[0,0,1] neg_hi:[0,0,1]
	v_add_f16_e32 v153, v160, v153
	v_bfi_b32 v160, s0, v159, v77
	v_pk_add_f16 v141, v160, v141
	v_mul_f16_sdwa v160, v75, s18 dst_sel:DWORD dst_unused:UNUSED_PAD src0_sel:WORD_1 src1_sel:DWORD
	v_fma_f16 v161, v158, s12, v160
	v_add_f16_e32 v143, v161, v143
	v_mul_f16_sdwa v161, v158, s12 dst_sel:DWORD dst_unused:UNUSED_PAD src0_sel:WORD_1 src1_sel:DWORD
	v_fma_f16 v160, v158, s12, -v160
	v_add_f16_e32 v142, v160, v142
	v_fma_f16 v160, v75, s18, v161
	v_add_f16_e32 v144, v160, v144
	v_mul_f16_sdwa v160, v75, s4 dst_sel:DWORD dst_unused:UNUSED_PAD src0_sel:WORD_1 src1_sel:DWORD
	v_fma_f16 v162, v75, s13, v161
	v_fma_f16 v161, v158, s2, v160
	v_add_f16_e32 v147, v161, v147
	v_mul_f16_sdwa v161, v158, s2 dst_sel:DWORD dst_unused:UNUSED_PAD src0_sel:WORD_1 src1_sel:DWORD
	v_fma_f16 v160, v158, s2, -v160
	v_add_f16_e32 v146, v160, v146
	v_fma_f16 v160, v75, s4, v161
	v_add_f16_e32 v148, v160, v148
	v_mul_f16_sdwa v160, v75, s21 dst_sel:DWORD dst_unused:UNUSED_PAD src0_sel:WORD_1 src1_sel:DWORD
	v_add_f16_e32 v145, v162, v145
	v_fma_f16 v162, v75, s23, v161
	v_fma_f16 v161, v158, s19, v160
	v_add_f16_e32 v151, v161, v151
	v_mul_f16_sdwa v161, v158, s19 dst_sel:DWORD dst_unused:UNUSED_PAD src0_sel:WORD_1 src1_sel:DWORD
	v_fma_f16 v160, v158, s19, -v160
	v_add_f16_e32 v150, v160, v150
	v_fma_f16 v160, v75, s21, v161
	v_add_f16_e32 v152, v160, v152
	v_pk_add_f16 v160, v73, v71
	v_pk_add_f16 v71, v71, v73 neg_lo:[0,1] neg_hi:[0,1]
	v_pk_mul_f16 v73, v71, s21 op_sel_hi:[1,0]
	v_add_f16_e32 v149, v162, v149
	v_fma_f16 v162, v75, s22, v161
	v_pk_fma_f16 v161, v160, s19, v73 op_sel:[0,0,1] op_sel_hi:[1,0,0]
	v_pk_fma_f16 v73, v160, s19, v73 op_sel:[0,0,1] op_sel_hi:[1,0,0] neg_lo:[0,0,1] neg_hi:[0,0,1]
	v_add_f16_e32 v153, v162, v153
	v_bfi_b32 v162, s0, v161, v73
	v_pk_add_f16 v141, v162, v141
	v_mul_f16_sdwa v162, v71, s23 dst_sel:DWORD dst_unused:UNUSED_PAD src0_sel:WORD_1 src1_sel:DWORD
	v_fma_f16 v163, v160, s2, v162
	v_add_f16_e32 v143, v163, v143
	v_mul_f16_sdwa v163, v160, s2 dst_sel:DWORD dst_unused:UNUSED_PAD src0_sel:WORD_1 src1_sel:DWORD
	v_fma_f16 v162, v160, s2, -v162
	v_add_f16_e32 v142, v162, v142
	v_fma_f16 v162, v71, s23, v163
	v_add_f16_e32 v144, v162, v144
	v_mul_f16_sdwa v162, v71, s17 dst_sel:DWORD dst_unused:UNUSED_PAD src0_sel:WORD_1 src1_sel:DWORD
	v_fma_f16 v164, v71, s4, v163
	v_fma_f16 v163, v160, s16, v162
	v_add_f16_e32 v147, v163, v147
	v_mul_f16_sdwa v163, v160, s16 dst_sel:DWORD dst_unused:UNUSED_PAD src0_sel:WORD_1 src1_sel:DWORD
	v_fma_f16 v162, v160, s16, -v162
	v_add_f16_e32 v146, v162, v146
	v_fma_f16 v162, v71, s17, v163
	v_add_f16_e32 v148, v162, v148
	v_mul_f16_sdwa v162, v71, s20 dst_sel:DWORD dst_unused:UNUSED_PAD src0_sel:WORD_1 src1_sel:DWORD
	v_add_f16_e32 v145, v164, v145
	v_fma_f16 v164, v71, s24, v163
	v_fma_f16 v163, v160, s3, v162
	v_add_f16_e32 v151, v163, v151
	v_mul_f16_sdwa v163, v160, s3 dst_sel:DWORD dst_unused:UNUSED_PAD src0_sel:WORD_1 src1_sel:DWORD
	v_add_f16_e32 v149, v164, v149
	v_fma_f16 v164, v71, s5, v163
	s_waitcnt lgkmcnt(0)
	; wave barrier
	v_add_f16_e32 v153, v164, v153
	ds_write2_b32 v116, v64, v141 offset1:1
	v_pack_b32_f16 v64, v147, v149
	v_pack_b32_f16 v141, v143, v145
	ds_write2_b32 v116, v141, v64 offset0:2 offset1:3
	v_pack_b32_f16 v64, v151, v153
	ds_write_b32 v116, v64 offset:16
	v_pk_mul_f16 v64, v139, s19 op_sel_hi:[1,0]
	v_pk_fma_f16 v139, v87, s21, v64 op_sel:[0,0,1] op_sel_hi:[1,0,0]
	v_pk_fma_f16 v64, v87, s21, v64 op_sel:[0,0,1] op_sel_hi:[1,0,0] neg_lo:[1,0,0] neg_hi:[1,0,0]
	v_alignbit_b32 v87, s0, v69, 16
	v_alignbit_b32 v141, s0, v139, 16
	v_pk_add_f16 v87, v87, v139
	v_pk_mul_f16 v139, v154, s2 op_sel_hi:[1,0]
	v_pk_add_f16 v64, v69, v64 op_sel:[1,0] op_sel_hi:[0,1]
	v_pk_fma_f16 v143, v83, s23, v139 op_sel:[0,0,1] op_sel_hi:[1,0,0]
	v_pk_fma_f16 v83, v83, s23, v139 op_sel:[0,0,1] op_sel_hi:[1,0,0] neg_lo:[1,0,0] neg_hi:[1,0,0]
	v_pk_add_f16 v64, v83, v64
	v_pk_add_f16 v83, v143, v87
	v_pk_mul_f16 v87, v156, s16 op_sel_hi:[1,0]
	v_pk_fma_f16 v139, v79, s17, v87 op_sel:[0,0,1] op_sel_hi:[1,0,0]
	v_pk_fma_f16 v79, v79, s17, v87 op_sel:[0,0,1] op_sel_hi:[1,0,0] neg_lo:[1,0,0] neg_hi:[1,0,0]
	v_pk_add_f16 v64, v79, v64
	v_pk_add_f16 v79, v139, v83
	v_pk_mul_f16 v83, v158, s3 op_sel_hi:[1,0]
	v_pk_add_f16 v141, v69, v141
	v_alignbit_b32 v145, s0, v143, 16
	v_pk_fma_f16 v87, v75, s20, v83 op_sel:[0,0,1] op_sel_hi:[1,0,0]
	v_pk_fma_f16 v75, v75, s20, v83 op_sel:[0,0,1] op_sel_hi:[1,0,0] neg_lo:[1,0,0] neg_hi:[1,0,0]
	v_pk_add_f16 v141, v145, v141
	v_alignbit_b32 v143, s0, v139, 16
	v_pk_add_f16 v64, v75, v64
	v_pk_add_f16 v75, v87, v79
	v_pk_mul_f16 v79, v160, s12 op_sel_hi:[1,0]
	v_fma_f16 v162, v160, s3, -v162
	v_pk_add_f16 v141, v143, v141
	v_alignbit_b32 v139, s0, v87, 16
	v_pk_fma_f16 v83, v71, s13, v79 op_sel:[0,0,1] op_sel_hi:[1,0,0]
	v_add_f16_e32 v150, v162, v150
	v_fma_f16 v162, v71, s20, v163
	v_pk_add_f16 v139, v139, v141
	v_alignbit_b32 v87, s0, v83, 16
	v_pk_fma_f16 v71, v71, s13, v79 op_sel:[0,0,1] op_sel_hi:[1,0,0] neg_lo:[1,0,0] neg_hi:[1,0,0]
	v_pk_add_f16 v87, v87, v139
	v_pk_add_f16 v64, v71, v64
	;; [unrolled: 1-line block ×3, first 2 shown]
	v_add_f16_e32 v152, v162, v152
	v_alignbit_b32 v71, v71, v64, 16
	v_pack_b32_f16 v64, v87, v64
	ds_write2_b32 v116, v64, v71 offset0:5 offset1:6
	v_pack_b32_f16 v64, v146, v148
	v_pack_b32_f16 v71, v150, v152
	ds_write2_b32 v116, v71, v64 offset0:7 offset1:8
	v_bfi_b32 v64, s0, v89, v140
	v_pk_add_f16 v64, v69, v64
	v_bfi_b32 v69, s0, v85, v155
	v_pk_add_f16 v64, v69, v64
	;; [unrolled: 2-line block ×5, first 2 shown]
	v_pk_add_f16 v64, v69, v64
	v_pack_b32_f16 v69, v142, v144
	ds_write2_b32 v116, v69, v64 offset0:9 offset1:10
	v_pk_add_f16 v64, v138, v84
	v_pk_add_f16 v64, v64, v80
	;; [unrolled: 1-line block ×6, first 2 shown]
	v_pk_add_f16 v71, v88, v90 neg_lo:[0,1] neg_hi:[0,1]
	v_pk_add_f16 v64, v64, v82
	v_pk_add_f16 v69, v90, v88
	v_pk_mul_f16 v73, v71, s4 op_sel_hi:[1,0]
	v_pk_add_f16 v141, v86, v84
	v_pk_add_f16 v84, v84, v86 neg_lo:[0,1] neg_hi:[0,1]
	v_pk_add_f16 v64, v64, v86
	v_pk_fma_f16 v75, v69, s2, v73 op_sel:[0,0,1] op_sel_hi:[1,0,0]
	v_pk_fma_f16 v73, v69, s2, v73 op_sel:[0,0,1] op_sel_hi:[1,0,0] neg_lo:[0,0,1] neg_hi:[0,0,1]
	v_pk_mul_f16 v86, v84, s5 op_sel_hi:[1,0]
	v_bfi_b32 v77, s0, v75, v73
	v_pk_fma_f16 v142, v141, s3, v86 op_sel:[0,0,1] op_sel_hi:[1,0,0]
	v_pk_fma_f16 v86, v141, s3, v86 op_sel:[0,0,1] op_sel_hi:[1,0,0] neg_lo:[0,0,1] neg_hi:[0,0,1]
	v_pk_add_f16 v77, v70, v77
	v_mul_f16_sdwa v79, v71, s5 dst_sel:DWORD dst_unused:UNUSED_PAD src0_sel:WORD_1 src1_sel:DWORD
	v_bfi_b32 v143, s0, v142, v86
	v_fma_f16 v81, v69, s3, v79
	v_pk_add_f16 v77, v143, v77
	v_mul_f16_sdwa v143, v84, s17 dst_sel:DWORD dst_unused:UNUSED_PAD src0_sel:WORD_1 src1_sel:DWORD
	v_add_f16_e32 v81, v70, v81
	v_mul_f16_sdwa v83, v69, s3 dst_sel:DWORD dst_unused:UNUSED_PAD src0_sel:WORD_1 src1_sel:DWORD
	v_fma_f16 v79, v69, s3, -v79
	v_fma_f16 v144, v141, s16, v143
	v_fma_f16 v85, v71, s20, v83
	v_add_f16_e32 v79, v70, v79
	v_fma_f16 v83, v71, s5, v83
	v_add_f16_e32 v81, v144, v81
	v_mul_f16_sdwa v144, v141, s16 dst_sel:DWORD dst_unused:UNUSED_PAD src0_sel:WORD_1 src1_sel:DWORD
	v_fma_f16 v143, v141, s16, -v143
	v_add_f16_sdwa v83, v70, v83 dst_sel:DWORD dst_unused:UNUSED_PAD src0_sel:WORD_1 src1_sel:DWORD
	v_mul_f16_sdwa v87, v71, s13 dst_sel:DWORD dst_unused:UNUSED_PAD src0_sel:WORD_1 src1_sel:DWORD
	v_add_f16_e32 v79, v143, v79
	v_fma_f16 v143, v84, s17, v144
	v_fma_f16 v88, v69, s12, v87
	v_add_f16_e32 v83, v143, v83
	v_mul_f16_sdwa v143, v84, s22 dst_sel:DWORD dst_unused:UNUSED_PAD src0_sel:WORD_1 src1_sel:DWORD
	v_add_f16_e32 v88, v70, v88
	v_mul_f16_sdwa v89, v69, s12 dst_sel:DWORD dst_unused:UNUSED_PAD src0_sel:WORD_1 src1_sel:DWORD
	v_fma_f16 v87, v69, s12, -v87
	v_fma_f16 v145, v84, s24, v144
	v_fma_f16 v144, v141, s19, v143
	v_pk_add_f16 v64, v64, v90
	v_fma_f16 v90, v71, s18, v89
	v_add_f16_e32 v87, v70, v87
	v_fma_f16 v89, v71, s13, v89
	v_add_f16_e32 v88, v144, v88
	v_mul_f16_sdwa v144, v141, s19 dst_sel:DWORD dst_unused:UNUSED_PAD src0_sel:WORD_1 src1_sel:DWORD
	v_fma_f16 v143, v141, s19, -v143
	v_add_f16_sdwa v89, v70, v89 dst_sel:DWORD dst_unused:UNUSED_PAD src0_sel:WORD_1 src1_sel:DWORD
	v_mul_f16_sdwa v116, v71, s17 dst_sel:DWORD dst_unused:UNUSED_PAD src0_sel:WORD_1 src1_sel:DWORD
	v_add_f16_e32 v87, v143, v87
	v_fma_f16 v143, v84, s22, v144
	v_add_f16_sdwa v85, v70, v85 dst_sel:DWORD dst_unused:UNUSED_PAD src0_sel:WORD_1 src1_sel:DWORD
	v_fma_f16 v138, v69, s16, v116
	v_add_f16_e32 v89, v143, v89
	v_mul_f16_sdwa v143, v84, s18 dst_sel:DWORD dst_unused:UNUSED_PAD src0_sel:WORD_1 src1_sel:DWORD
	v_add_f16_e32 v138, v70, v138
	v_mul_f16_sdwa v139, v69, s16 dst_sel:DWORD dst_unused:UNUSED_PAD src0_sel:WORD_1 src1_sel:DWORD
	v_fma_f16 v116, v69, s16, -v116
	v_add_f16_e32 v85, v145, v85
	v_fma_f16 v145, v84, s21, v144
	v_fma_f16 v144, v141, s12, v143
	;; [unrolled: 1-line block ×3, first 2 shown]
	v_add_f16_e32 v116, v70, v116
	v_fma_f16 v139, v71, s17, v139
	v_add_f16_e32 v138, v144, v138
	v_mul_f16_sdwa v144, v141, s12 dst_sel:DWORD dst_unused:UNUSED_PAD src0_sel:WORD_1 src1_sel:DWORD
	v_fma_f16 v143, v141, s12, -v143
	v_add_f16_sdwa v139, v70, v139 dst_sel:DWORD dst_unused:UNUSED_PAD src0_sel:WORD_1 src1_sel:DWORD
	v_add_f16_e32 v116, v143, v116
	v_fma_f16 v143, v84, s18, v144
	v_add_f16_e32 v139, v143, v139
	v_pk_add_f16 v143, v82, v80
	v_pk_add_f16 v80, v80, v82 neg_lo:[0,1] neg_hi:[0,1]
	v_add_f16_sdwa v90, v70, v90 dst_sel:DWORD dst_unused:UNUSED_PAD src0_sel:WORD_1 src1_sel:DWORD
	v_pk_mul_f16 v82, v80, s13 op_sel_hi:[1,0]
	v_add_f16_sdwa v140, v70, v140 dst_sel:DWORD dst_unused:UNUSED_PAD src0_sel:WORD_1 src1_sel:DWORD
	v_add_f16_e32 v90, v145, v90
	v_fma_f16 v145, v84, s13, v144
	v_pk_fma_f16 v144, v143, s12, v82 op_sel:[0,0,1] op_sel_hi:[1,0,0]
	v_pk_fma_f16 v82, v143, s12, v82 op_sel:[0,0,1] op_sel_hi:[1,0,0] neg_lo:[0,0,1] neg_hi:[0,0,1]
	v_add_f16_e32 v140, v145, v140
	v_bfi_b32 v145, s0, v144, v82
	v_pk_add_f16 v77, v145, v77
	v_mul_f16_sdwa v145, v80, s22 dst_sel:DWORD dst_unused:UNUSED_PAD src0_sel:WORD_1 src1_sel:DWORD
	v_fma_f16 v146, v143, s19, v145
	v_add_f16_e32 v81, v146, v81
	v_mul_f16_sdwa v146, v143, s19 dst_sel:DWORD dst_unused:UNUSED_PAD src0_sel:WORD_1 src1_sel:DWORD
	v_fma_f16 v145, v143, s19, -v145
	v_add_f16_e32 v79, v145, v79
	v_fma_f16 v145, v80, s22, v146
	v_add_f16_e32 v83, v145, v83
	v_mul_f16_sdwa v145, v80, s20 dst_sel:DWORD dst_unused:UNUSED_PAD src0_sel:WORD_1 src1_sel:DWORD
	v_fma_f16 v147, v80, s21, v146
	v_fma_f16 v146, v143, s3, v145
	v_add_f16_e32 v88, v146, v88
	v_mul_f16_sdwa v146, v143, s3 dst_sel:DWORD dst_unused:UNUSED_PAD src0_sel:WORD_1 src1_sel:DWORD
	v_fma_f16 v145, v143, s3, -v145
	v_add_f16_e32 v87, v145, v87
	v_fma_f16 v145, v80, s20, v146
	v_add_f16_e32 v89, v145, v89
	v_mul_f16_sdwa v145, v80, s4 dst_sel:DWORD dst_unused:UNUSED_PAD src0_sel:WORD_1 src1_sel:DWORD
	v_add_f16_e32 v85, v147, v85
	v_fma_f16 v147, v80, s5, v146
	v_fma_f16 v146, v143, s2, v145
	v_add_f16_e32 v138, v146, v138
	v_mul_f16_sdwa v146, v143, s2 dst_sel:DWORD dst_unused:UNUSED_PAD src0_sel:WORD_1 src1_sel:DWORD
	v_fma_f16 v145, v143, s2, -v145
	v_add_f16_e32 v116, v145, v116
	v_fma_f16 v145, v80, s4, v146
	v_add_f16_e32 v139, v145, v139
	v_pk_add_f16 v145, v78, v76
	v_pk_add_f16 v76, v76, v78 neg_lo:[0,1] neg_hi:[0,1]
	v_pk_mul_f16 v78, v76, s17 op_sel_hi:[1,0]
	v_add_f16_e32 v90, v147, v90
	v_fma_f16 v147, v80, s23, v146
	v_pk_fma_f16 v146, v145, s16, v78 op_sel:[0,0,1] op_sel_hi:[1,0,0]
	v_pk_fma_f16 v78, v145, s16, v78 op_sel:[0,0,1] op_sel_hi:[1,0,0] neg_lo:[0,0,1] neg_hi:[0,0,1]
	v_add_f16_e32 v140, v147, v140
	v_bfi_b32 v147, s0, v146, v78
	v_pk_add_f16 v77, v147, v77
	v_mul_f16_sdwa v147, v76, s18 dst_sel:DWORD dst_unused:UNUSED_PAD src0_sel:WORD_1 src1_sel:DWORD
	v_fma_f16 v148, v145, s12, v147
	v_add_f16_e32 v81, v148, v81
	v_mul_f16_sdwa v148, v145, s12 dst_sel:DWORD dst_unused:UNUSED_PAD src0_sel:WORD_1 src1_sel:DWORD
	v_fma_f16 v147, v145, s12, -v147
	v_add_f16_e32 v79, v147, v79
	v_fma_f16 v147, v76, s18, v148
	v_add_f16_e32 v83, v147, v83
	v_mul_f16_sdwa v147, v76, s4 dst_sel:DWORD dst_unused:UNUSED_PAD src0_sel:WORD_1 src1_sel:DWORD
	v_fma_f16 v149, v76, s13, v148
	v_fma_f16 v148, v145, s2, v147
	v_add_f16_e32 v88, v148, v88
	v_mul_f16_sdwa v148, v145, s2 dst_sel:DWORD dst_unused:UNUSED_PAD src0_sel:WORD_1 src1_sel:DWORD
	v_fma_f16 v147, v145, s2, -v147
	v_add_f16_e32 v87, v147, v87
	v_fma_f16 v147, v76, s4, v148
	v_add_f16_e32 v89, v147, v89
	v_mul_f16_sdwa v147, v76, s21 dst_sel:DWORD dst_unused:UNUSED_PAD src0_sel:WORD_1 src1_sel:DWORD
	v_add_f16_e32 v85, v149, v85
	v_fma_f16 v149, v76, s23, v148
	v_fma_f16 v148, v145, s19, v147
	v_add_f16_e32 v138, v148, v138
	v_mul_f16_sdwa v148, v145, s19 dst_sel:DWORD dst_unused:UNUSED_PAD src0_sel:WORD_1 src1_sel:DWORD
	v_fma_f16 v147, v145, s19, -v147
	v_add_f16_e32 v116, v147, v116
	v_fma_f16 v147, v76, s21, v148
	v_add_f16_e32 v139, v147, v139
	v_pk_add_f16 v147, v74, v72
	v_pk_add_f16 v72, v72, v74 neg_lo:[0,1] neg_hi:[0,1]
	v_pk_mul_f16 v74, v72, s21 op_sel_hi:[1,0]
	v_add_f16_e32 v90, v149, v90
	v_fma_f16 v149, v76, s22, v148
	v_pk_fma_f16 v148, v147, s19, v74 op_sel:[0,0,1] op_sel_hi:[1,0,0]
	v_pk_fma_f16 v74, v147, s19, v74 op_sel:[0,0,1] op_sel_hi:[1,0,0] neg_lo:[0,0,1] neg_hi:[0,0,1]
	v_add_f16_e32 v140, v149, v140
	v_bfi_b32 v149, s0, v148, v74
	v_pk_add_f16 v77, v149, v77
	v_mul_f16_sdwa v149, v72, s23 dst_sel:DWORD dst_unused:UNUSED_PAD src0_sel:WORD_1 src1_sel:DWORD
	v_fma_f16 v150, v147, s2, v149
	v_add_f16_e32 v81, v150, v81
	v_mul_f16_sdwa v150, v147, s2 dst_sel:DWORD dst_unused:UNUSED_PAD src0_sel:WORD_1 src1_sel:DWORD
	v_fma_f16 v149, v147, s2, -v149
	v_add_f16_e32 v79, v149, v79
	v_fma_f16 v149, v72, s23, v150
	v_add_f16_e32 v83, v149, v83
	v_mul_f16_sdwa v149, v72, s17 dst_sel:DWORD dst_unused:UNUSED_PAD src0_sel:WORD_1 src1_sel:DWORD
	v_fma_f16 v151, v72, s4, v150
	v_fma_f16 v150, v147, s16, v149
	v_add_f16_e32 v88, v150, v88
	v_mul_f16_sdwa v150, v147, s16 dst_sel:DWORD dst_unused:UNUSED_PAD src0_sel:WORD_1 src1_sel:DWORD
	v_fma_f16 v149, v147, s16, -v149
	v_add_f16_e32 v87, v149, v87
	v_fma_f16 v149, v72, s17, v150
	v_add_f16_e32 v89, v149, v89
	v_mul_f16_sdwa v149, v72, s20 dst_sel:DWORD dst_unused:UNUSED_PAD src0_sel:WORD_1 src1_sel:DWORD
	v_add_f16_e32 v85, v151, v85
	v_fma_f16 v151, v72, s24, v150
	v_fma_f16 v150, v147, s3, v149
	v_add_f16_e32 v138, v150, v138
	v_mul_f16_sdwa v150, v147, s3 dst_sel:DWORD dst_unused:UNUSED_PAD src0_sel:WORD_1 src1_sel:DWORD
	v_add_f16_e32 v90, v151, v90
	v_fma_f16 v151, v72, s5, v150
	v_add_f16_e32 v140, v151, v140
	ds_write2_b32 v115, v64, v77 offset1:1
	v_pack_b32_f16 v64, v88, v90
	v_pack_b32_f16 v77, v81, v85
	ds_write2_b32 v115, v77, v64 offset0:2 offset1:3
	v_pack_b32_f16 v64, v138, v140
	ds_write_b32 v115, v64 offset:16
	v_pk_mul_f16 v64, v69, s19 op_sel_hi:[1,0]
	v_pk_fma_f16 v69, v71, s21, v64 op_sel:[0,0,1] op_sel_hi:[1,0,0]
	v_pk_fma_f16 v64, v71, s21, v64 op_sel:[0,0,1] op_sel_hi:[1,0,0] neg_lo:[1,0,0] neg_hi:[1,0,0]
	v_alignbit_b32 v71, s0, v70, 16
	v_alignbit_b32 v77, s0, v69, 16
	v_pk_add_f16 v69, v71, v69
	v_pk_mul_f16 v71, v141, s2 op_sel_hi:[1,0]
	v_pk_add_f16 v64, v70, v64 op_sel:[1,0] op_sel_hi:[0,1]
	v_pk_fma_f16 v81, v84, s23, v71 op_sel:[0,0,1] op_sel_hi:[1,0,0]
	v_pk_fma_f16 v71, v84, s23, v71 op_sel:[0,0,1] op_sel_hi:[1,0,0] neg_lo:[1,0,0] neg_hi:[1,0,0]
	v_pk_add_f16 v64, v71, v64
	v_pk_mul_f16 v71, v143, s16 op_sel_hi:[1,0]
	v_alignbit_b32 v85, s0, v81, 16
	v_pk_add_f16 v69, v81, v69
	v_pk_fma_f16 v81, v80, s17, v71 op_sel:[0,0,1] op_sel_hi:[1,0,0]
	v_pk_fma_f16 v71, v80, s17, v71 op_sel:[0,0,1] op_sel_hi:[1,0,0] neg_lo:[1,0,0] neg_hi:[1,0,0]
	v_pk_add_f16 v64, v71, v64
	v_pk_mul_f16 v71, v145, s3 op_sel_hi:[1,0]
	v_pk_add_f16 v77, v70, v77
	v_pk_fma_f16 v80, v76, s20, v71 op_sel:[0,0,1] op_sel_hi:[1,0,0]
	v_pk_fma_f16 v71, v76, s20, v71 op_sel:[0,0,1] op_sel_hi:[1,0,0] neg_lo:[1,0,0] neg_hi:[1,0,0]
	v_pk_add_f16 v77, v85, v77
	v_alignbit_b32 v84, s0, v81, 16
	v_pk_add_f16 v64, v71, v64
	v_pk_mul_f16 v71, v147, s12 op_sel_hi:[1,0]
	v_pk_add_f16 v77, v84, v77
	v_pk_add_f16 v69, v81, v69
	v_alignbit_b32 v81, s0, v80, 16
	v_pk_fma_f16 v76, v72, s13, v71 op_sel:[0,0,1] op_sel_hi:[1,0,0]
	v_fma_f16 v149, v147, s3, -v149
	v_pk_add_f16 v77, v81, v77
	v_pk_add_f16 v69, v80, v69
	v_alignbit_b32 v80, s0, v76, 16
	v_pk_fma_f16 v71, v72, s13, v71 op_sel:[0,0,1] op_sel_hi:[1,0,0] neg_lo:[1,0,0] neg_hi:[1,0,0]
	v_add_f16_e32 v116, v149, v116
	v_fma_f16 v149, v72, s20, v150
	v_pk_add_f16 v77, v80, v77
	v_pk_add_f16 v64, v71, v64
	;; [unrolled: 1-line block ×3, first 2 shown]
	v_add_f16_e32 v139, v149, v139
	v_alignbit_b32 v69, v69, v64, 16
	v_pack_b32_f16 v64, v77, v64
	ds_write2_b32 v115, v64, v69 offset0:5 offset1:6
	v_pack_b32_f16 v64, v87, v89
	v_pack_b32_f16 v69, v116, v139
	ds_write2_b32 v115, v69, v64 offset0:7 offset1:8
	v_bfi_b32 v64, s0, v73, v75
	v_pk_add_f16 v64, v70, v64
	v_bfi_b32 v69, s0, v86, v142
	v_pk_add_f16 v64, v69, v64
	;; [unrolled: 2-line block ×5, first 2 shown]
	v_pack_b32_f16 v69, v79, v83
	ds_write2_b32 v115, v69, v64 offset0:9 offset1:10
	s_and_saveexec_b64 s[0:1], vcc
	s_cbranch_execz .LBB0_13
; %bb.12:
	v_add_f16_sdwa v64, v124, v137 dst_sel:DWORD dst_unused:UNUSED_PAD src0_sel:WORD_1 src1_sel:DWORD
	v_mul_f16_e32 v69, 0xbbad, v64
	v_sub_f16_e32 v70, v68, v121
	v_add_f16_e32 v72, v120, v136
	v_fma_f16 v71, v70, s22, v69
	v_mul_f16_e32 v73, 0x3abb, v72
	v_sub_f16_e32 v74, v61, v60
	v_add_f16_e32 v71, v135, v71
	v_fma_f16 v75, v74, s4, v73
	v_add_f16_e32 v71, v75, v71
	v_add_f16_e32 v75, v122, v118
	v_mul_f16_e32 v76, 0xb93d, v75
	v_sub_f16_e32 v77, v62, v59
	v_fma_f16 v78, v77, s24, v76
	v_add_f16_e32 v71, v78, v71
	v_add_f16_e32 v78, v123, v119
	v_mul_f16_e32 v79, 0x36a6, v78
	v_sub_f16_e32 v80, v63, v66
	;; [unrolled: 5-line block ×3, first 2 shown]
	v_fma_f16 v84, v83, s18, v82
	v_sub_f16_sdwa v85, v137, v124 dst_sel:DWORD dst_unused:UNUSED_PAD src0_sel:DWORD src1_sel:WORD_1
	v_add_f16_e32 v71, v84, v71
	v_add_f16_e32 v84, v121, v68
	v_mul_f16_e32 v86, 0xb482, v85
	v_sub_f16_e32 v89, v136, v120
	v_fma_f16 v87, v84, s19, v86
	v_add_f16_e32 v88, v60, v61
	v_mul_f16_e32 v90, 0x3853, v89
	v_add_f16_e32 v87, v67, v87
	v_fma_f16 v115, v88, s2, v90
	v_sub_f16_e32 v116, v118, v122
	v_add_f16_e32 v87, v115, v87
	v_add_f16_e32 v115, v59, v62
	v_mul_f16_e32 v138, 0xba0c, v116
	v_fma_f16 v139, v115, s16, v138
	v_sub_f16_e32 v140, v119, v123
	v_add_f16_e32 v87, v139, v87
	v_add_f16_e32 v139, v66, v63
	v_mul_f16_e32 v141, 0x3b47, v140
	;; [unrolled: 5-line block ×3, first 2 shown]
	v_fma_f16 v145, v142, s12, v144
	v_add_f16_e32 v87, v145, v87
	v_mul_f16_e32 v145, 0xb93d, v64
	v_fma_f16 v146, v70, s24, v145
	v_mul_f16_e32 v147, 0xb08e, v72
	v_add_f16_e32 v146, v135, v146
	v_fma_f16 v148, v74, s13, v147
	v_add_f16_e32 v146, v148, v146
	v_mul_f16_e32 v148, 0x3abb, v75
	v_fma_f16 v149, v77, s23, v148
	v_add_f16_e32 v146, v149, v146
	v_mul_f16_e32 v149, 0xbbad, v78
	;; [unrolled: 3-line block ×4, first 2 shown]
	v_fma_f16 v152, v84, s16, v151
	v_mul_f16_e32 v153, 0x3beb, v89
	v_add_f16_e32 v152, v67, v152
	v_fma_f16 v154, v88, s12, v153
	v_add_f16_e32 v152, v154, v152
	v_mul_f16_e32 v154, 0xb853, v116
	v_fma_f16 v155, v115, s2, v154
	v_add_f16_e32 v152, v155, v152
	v_mul_f16_e32 v155, 0xb482, v140
	;; [unrolled: 3-line block ×4, first 2 shown]
	v_add_f16_e32 v68, v68, v67
	v_fma_f16 v158, v70, s18, v157
	v_mul_f16_e32 v159, 0xbbad, v72
	v_add_f16_e32 v61, v61, v68
	v_add_f16_e32 v158, v135, v158
	v_fma_f16 v160, v74, s21, v159
	v_add_f16_e32 v61, v62, v61
	v_add_f16_e32 v158, v160, v158
	v_mul_f16_e32 v160, 0x36a6, v75
	v_add_f16_e32 v61, v63, v61
	v_fma_f16 v161, v77, s5, v160
	v_add_f16_e32 v61, v124, v61
	v_add_f16_e32 v158, v161, v158
	v_mul_f16_e32 v161, 0x3abb, v78
	;; [unrolled: 5-line block ×3, first 2 shown]
	v_add_f16_e32 v59, v59, v61
	v_fma_f16 v61, v70, s21, v69
	v_fma_f16 v163, v83, s24, v162
	v_add_f16_e32 v61, v135, v61
	v_fma_f16 v62, v74, s23, v73
	v_add_f16_e32 v158, v163, v158
	v_mul_f16_e32 v163, 0xbbeb, v85
	v_add_f16_e32 v61, v62, v61
	v_fma_f16 v62, v77, s17, v76
	v_fma_f16 v164, v84, s12, v163
	v_mul_f16_e32 v165, 0x3482, v89
	v_add_f16_e32 v61, v62, v61
	v_fma_f16 v62, v80, s20, v79
	v_add_f16_e32 v164, v67, v164
	v_fma_f16 v166, v88, s19, v165
	v_add_f16_e32 v61, v62, v61
	v_fma_f16 v62, v83, s13, v82
	v_add_f16_e32 v164, v166, v164
	v_mul_f16_e32 v166, 0x3b47, v116
	v_add_f16_e32 v61, v62, v61
	v_fma_f16 v62, v84, s19, -v86
	v_fma_f16 v167, v115, s3, v166
	v_add_f16_e32 v62, v67, v62
	v_fma_f16 v63, v88, s2, -v90
	v_add_f16_e32 v164, v167, v164
	v_mul_f16_e32 v167, 0xb853, v140
	v_add_f16_e32 v62, v63, v62
	v_fma_f16 v63, v115, s16, -v138
	v_fma_f16 v168, v139, s2, v167
	v_add_f16_e32 v62, v63, v62
	v_fma_f16 v63, v139, s3, -v141
	v_add_f16_e32 v164, v168, v164
	v_mul_f16_e32 v168, 0xba0c, v143
	v_add_f16_e32 v62, v63, v62
	v_fma_f16 v63, v142, s12, -v144
	v_fma_f16 v169, v142, s16, v168
	v_add_f16_e32 v62, v63, v62
	v_fma_f16 v63, v70, s17, v145
	v_add_f16_e32 v164, v169, v164
	v_mul_f16_e32 v169, 0x36a6, v64
	v_add_f16_e32 v63, v135, v63
	v_fma_f16 v65, v74, s18, v147
	v_fma_f16 v170, v70, s20, v169
	v_mul_f16_e32 v171, 0xb93d, v72
	v_add_f16_e32 v63, v65, v63
	v_fma_f16 v65, v77, s4, v148
	v_add_f16_e32 v170, v135, v170
	v_fma_f16 v172, v74, s24, v171
	;; [unrolled: 2-line block ×3, first 2 shown]
	v_add_f16_e32 v170, v172, v170
	v_mul_f16_e32 v172, 0xbbad, v75
	v_add_f16_e32 v63, v65, v63
	v_fma_f16 v65, v83, s20, v150
	v_fma_f16 v173, v77, s21, v172
	v_add_f16_e32 v63, v65, v63
	v_fma_f16 v65, v84, s16, -v151
	v_add_f16_e32 v170, v173, v170
	v_mul_f16_e32 v173, 0xb08e, v78
	v_add_f16_e32 v65, v67, v65
	v_fma_f16 v66, v88, s12, -v153
	v_fma_f16 v174, v80, s13, v173
	v_add_f16_e32 v65, v66, v65
	v_fma_f16 v66, v115, s2, -v154
	v_add_f16_e32 v170, v174, v170
	v_mul_f16_e32 v174, 0x3abb, v81
	v_add_f16_e32 v65, v66, v65
	v_fma_f16 v66, v139, s19, -v155
	v_fma_f16 v175, v83, s4, v174
	v_add_f16_e32 v65, v66, v65
	v_fma_f16 v66, v142, s3, -v156
	v_add_f16_e32 v170, v175, v170
	v_mul_f16_e32 v175, 0xbb47, v85
	v_add_f16_e32 v65, v66, v65
	v_fma_f16 v66, v70, s13, v157
	v_fma_f16 v176, v84, s3, v175
	v_mul_f16_e32 v177, 0xba0c, v89
	v_add_f16_e32 v66, v135, v66
	v_fma_f16 v68, v74, s22, v159
	v_add_f16_e32 v176, v67, v176
	v_fma_f16 v178, v88, s16, v177
	;; [unrolled: 2-line block ×3, first 2 shown]
	v_add_f16_e32 v176, v178, v176
	v_mul_f16_e32 v178, 0x3482, v116
	v_add_f16_e32 v66, v68, v66
	v_fma_f16 v68, v80, s4, v161
	v_fma_f16 v179, v115, s19, v178
	v_add_f16_e32 v66, v68, v66
	v_fma_f16 v68, v83, s17, v162
	v_add_f16_e32 v176, v179, v176
	v_mul_f16_e32 v179, 0x3beb, v140
	v_add_f16_e32 v66, v68, v66
	v_fma_f16 v68, v84, s12, -v163
	v_fma_f16 v180, v139, s12, v179
	v_add_f16_e32 v68, v67, v68
	v_fma_f16 v69, v88, s19, -v165
	v_add_f16_e32 v176, v180, v176
	v_mul_f16_e32 v180, 0x3853, v143
	v_add_f16_e32 v68, v69, v68
	v_fma_f16 v69, v115, s3, -v166
	v_fma_f16 v181, v142, s2, v180
	v_mul_f16_e32 v64, 0x3abb, v64
	v_add_f16_e32 v68, v69, v68
	v_fma_f16 v69, v139, s2, -v167
	v_add_f16_e32 v176, v181, v176
	v_fma_f16 v181, v70, s23, v64
	v_mul_f16_e32 v72, 0x36a6, v72
	v_add_f16_e32 v68, v69, v68
	v_fma_f16 v69, v142, s16, -v168
	v_add_f16_e32 v181, v135, v181
	v_fma_f16 v182, v74, s20, v72
	v_mul_f16_e32 v75, 0xb08e, v75
	v_add_f16_e32 v59, v60, v59
	v_add_f16_e32 v60, v137, v135
	;; [unrolled: 1-line block ×3, first 2 shown]
	v_fma_f16 v69, v70, s5, v169
	v_fma_f16 v64, v70, s4, v64
	v_add_f16_e32 v181, v182, v181
	v_fma_f16 v182, v77, s18, v75
	v_mul_f16_e32 v78, 0xb93d, v78
	v_add_f16_e32 v60, v136, v60
	v_add_f16_e32 v69, v135, v69
	v_fma_f16 v73, v74, s17, v171
	v_add_f16_e32 v64, v135, v64
	v_fma_f16 v70, v74, s5, v72
	v_add_f16_e32 v181, v182, v181
	v_fma_f16 v182, v80, s24, v78
	v_mul_f16_e32 v81, 0xbbad, v81
	v_add_f16_e32 v60, v118, v60
	v_add_f16_e32 v69, v73, v69
	v_fma_f16 v73, v77, s22, v172
	v_add_f16_e32 v64, v70, v64
	;; [unrolled: 8-line block ×4, first 2 shown]
	v_fma_f16 v70, v83, s21, v81
	v_add_f16_e32 v182, v67, v182
	v_fma_f16 v183, v88, s3, v89
	v_mul_f16_e32 v116, 0xbbeb, v116
	v_add_f16_e32 v60, v126, v60
	v_add_f16_e32 v69, v73, v69
	v_fma_f16 v73, v84, s3, -v175
	v_add_f16_e32 v64, v70, v64
	v_fma_f16 v70, v84, s2, -v85
	v_add_f16_e32 v182, v183, v182
	v_fma_f16 v183, v115, s12, v116
	v_mul_f16_e32 v140, 0xba0c, v140
	v_add_f16_e32 v60, v123, v60
	v_add_f16_e32 v73, v67, v73
	;; [unrolled: 1-line block ×3, first 2 shown]
	v_fma_f16 v70, v88, s3, -v89
	v_add_f16_e32 v182, v183, v182
	v_fma_f16 v183, v139, s16, v140
	v_mul_f16_e32 v143, 0xb482, v143
	v_add_f16_e32 v60, v122, v60
	v_add_f16_e32 v67, v70, v67
	v_fma_f16 v70, v115, s12, -v116
	v_add_f16_e32 v182, v183, v182
	v_fma_f16 v183, v142, s19, v143
	v_add_f16_e32 v60, v120, v60
	v_add_f16_e32 v67, v70, v67
	v_fma_f16 v70, v139, s16, -v140
	v_add_f16_e32 v182, v183, v182
	v_add_f16_e32 v59, v121, v59
	v_add_f16_sdwa v60, v124, v60 dst_sel:DWORD dst_unused:UNUSED_PAD src0_sel:WORD_1 src1_sel:DWORD
	v_fma_f16 v76, v88, s16, -v177
	v_add_f16_e32 v67, v70, v67
	v_fma_f16 v70, v142, s19, -v143
	v_add_f16_e32 v73, v76, v73
	;; [unrolled: 2-line block ×3, first 2 shown]
	v_lshlrev_b32_e32 v70, 2, v117
	v_pack_b32_f16 v72, v182, v181
	v_pack_b32_f16 v59, v59, v60
	v_add_f16_e32 v73, v76, v73
	v_fma_f16 v76, v139, s12, -v179
	ds_write2_b32 v70, v59, v72 offset1:1
	v_pack_b32_f16 v59, v164, v158
	v_pack_b32_f16 v60, v176, v170
	v_add_f16_e32 v73, v76, v73
	v_fma_f16 v76, v142, s2, -v180
	ds_write2_b32 v70, v60, v59 offset0:2 offset1:3
	v_pack_b32_f16 v59, v87, v71
	v_pack_b32_f16 v60, v152, v146
	v_add_f16_e32 v73, v76, v73
	ds_write2_b32 v70, v60, v59 offset0:4 offset1:5
	v_pack_b32_f16 v59, v65, v63
	v_pack_b32_f16 v60, v62, v61
	ds_write2_b32 v70, v60, v59 offset0:6 offset1:7
	v_pack_b32_f16 v59, v73, v69
	v_pack_b32_f16 v60, v68, v66
	ds_write2_b32 v70, v60, v59 offset0:8 offset1:9
	v_pack_b32_f16 v59, v67, v64
	ds_write_b32 v70, v59 offset:40
.LBB0_13:
	s_or_b64 exec, exec, s[0:1]
	v_add_u32_e32 v64, 0x200, v91
	s_waitcnt lgkmcnt(0)
	; wave barrier
	s_waitcnt lgkmcnt(0)
	ds_read2_b32 v[67:68], v64 offset0:92 offset1:147
	v_add_u32_e32 v61, 0x800, v91
	ds_read2_b32 v[69:70], v61 offset0:38 offset1:93
	v_add_u32_e32 v60, 0xc00, v91
	ds_read2_b32 v[71:72], v60 offset0:2 offset1:57
	s_waitcnt lgkmcnt(2)
	v_lshrrev_b32_e32 v90, 16, v68
	v_add_u32_e32 v59, 0x1000, v91
	ds_read2_b32 v[73:74], v59 offset0:76 offset1:131
	v_mul_f16_sdwa v147, v0, v90 dst_sel:DWORD dst_unused:UNUSED_PAD src0_sel:WORD_1 src1_sel:DWORD
	s_waitcnt lgkmcnt(2)
	v_lshrrev_b32_e32 v115, 16, v69
	v_add_u32_e32 v62, 0x400, v91
	v_fma_f16 v147, v0, v68, v147
	v_mul_f16_sdwa v68, v0, v68 dst_sel:DWORD dst_unused:UNUSED_PAD src0_sel:WORD_1 src1_sel:DWORD
	ds_read2_b32 v[75:76], v62 offset0:74 offset1:129
	v_fma_f16 v0, v0, v90, -v68
	v_mul_f16_sdwa v68, v1, v115 dst_sel:DWORD dst_unused:UNUSED_PAD src0_sel:WORD_1 src1_sel:DWORD
	s_waitcnt lgkmcnt(2)
	v_lshrrev_b32_e32 v116, 16, v72
	v_fma_f16 v68, v1, v69, v68
	v_mul_f16_sdwa v69, v1, v69 dst_sel:DWORD dst_unused:UNUSED_PAD src0_sel:WORD_1 src1_sel:DWORD
	v_fma_f16 v1, v1, v115, -v69
	v_mul_f16_sdwa v69, v2, v116 dst_sel:DWORD dst_unused:UNUSED_PAD src0_sel:WORD_1 src1_sel:DWORD
	s_waitcnt lgkmcnt(1)
	v_lshrrev_b32_e32 v117, 16, v73
	v_fma_f16 v69, v2, v72, v69
	v_mul_f16_sdwa v72, v2, v72 dst_sel:DWORD dst_unused:UNUSED_PAD src0_sel:WORD_1 src1_sel:DWORD
	ds_read2_b32 v[77:78], v60 offset0:112 offset1:167
	v_fma_f16 v2, v2, v116, -v72
	v_mul_f16_sdwa v72, v3, v117 dst_sel:DWORD dst_unused:UNUSED_PAD src0_sel:WORD_1 src1_sel:DWORD
	s_waitcnt lgkmcnt(1)
	v_lshrrev_b32_e32 v119, 16, v75
	v_fma_f16 v72, v3, v73, v72
	v_mul_f16_sdwa v73, v3, v73 dst_sel:DWORD dst_unused:UNUSED_PAD src0_sel:WORD_1 src1_sel:DWORD
	v_fma_f16 v3, v3, v117, -v73
	v_mul_f16_sdwa v73, v4, v119 dst_sel:DWORD dst_unused:UNUSED_PAD src0_sel:WORD_1 src1_sel:DWORD
	v_lshrrev_b32_e32 v120, 16, v70
	v_fma_f16 v73, v4, v75, v73
	v_mul_f16_sdwa v75, v4, v75 dst_sel:DWORD dst_unused:UNUSED_PAD src0_sel:WORD_1 src1_sel:DWORD
	v_fma_f16 v4, v4, v119, -v75
	v_mul_f16_sdwa v75, v5, v120 dst_sel:DWORD dst_unused:UNUSED_PAD src0_sel:WORD_1 src1_sel:DWORD
	s_waitcnt lgkmcnt(0)
	v_lshrrev_b32_e32 v121, 16, v77
	v_fma_f16 v75, v5, v70, v75
	v_mul_f16_sdwa v70, v5, v70 dst_sel:DWORD dst_unused:UNUSED_PAD src0_sel:WORD_1 src1_sel:DWORD
	ds_read2_b32 v[81:82], v61 offset0:148 offset1:203
	v_fma_f16 v5, v5, v120, -v70
	v_mul_f16_sdwa v70, v6, v121 dst_sel:DWORD dst_unused:UNUSED_PAD src0_sel:WORD_1 src1_sel:DWORD
	v_lshrrev_b32_e32 v122, 16, v74
	v_fma_f16 v70, v6, v77, v70
	v_mul_f16_sdwa v77, v6, v77 dst_sel:DWORD dst_unused:UNUSED_PAD src0_sel:WORD_1 src1_sel:DWORD
	v_fma_f16 v6, v6, v121, -v77
	v_mul_f16_sdwa v77, v7, v122 dst_sel:DWORD dst_unused:UNUSED_PAD src0_sel:WORD_1 src1_sel:DWORD
	v_lshrrev_b32_e32 v124, 16, v76
	v_fma_f16 v77, v7, v74, v77
	v_mul_f16_sdwa v74, v7, v74 dst_sel:DWORD dst_unused:UNUSED_PAD src0_sel:WORD_1 src1_sel:DWORD
	ds_read2_b32 v[83:84], v59 offset0:186 offset1:241
	v_fma_f16 v7, v7, v122, -v74
	v_mul_f16_sdwa v74, v8, v124 dst_sel:DWORD dst_unused:UNUSED_PAD src0_sel:WORD_1 src1_sel:DWORD
	s_waitcnt lgkmcnt(1)
	v_lshrrev_b32_e32 v125, 16, v81
	v_fma_f16 v74, v8, v76, v74
	v_mul_f16_sdwa v76, v8, v76 dst_sel:DWORD dst_unused:UNUSED_PAD src0_sel:WORD_1 src1_sel:DWORD
	ds_read2_b32 v[85:86], v62 offset0:184 offset1:239
	v_fma_f16 v8, v8, v124, -v76
	v_mul_f16_sdwa v76, v9, v125 dst_sel:DWORD dst_unused:UNUSED_PAD src0_sel:WORD_1 src1_sel:DWORD
	v_lshrrev_b32_e32 v126, 16, v78
	v_fma_f16 v76, v9, v81, v76
	v_mul_f16_sdwa v81, v9, v81 dst_sel:DWORD dst_unused:UNUSED_PAD src0_sel:WORD_1 src1_sel:DWORD
	v_fma_f16 v9, v9, v125, -v81
	v_mul_f16_sdwa v81, v10, v126 dst_sel:DWORD dst_unused:UNUSED_PAD src0_sel:WORD_1 src1_sel:DWORD
	v_add_u32_e32 v63, 0xe00, v91
	s_waitcnt lgkmcnt(1)
	v_lshrrev_b32_e32 v135, 16, v83
	v_fma_f16 v81, v10, v78, v81
	v_mul_f16_sdwa v78, v10, v78 dst_sel:DWORD dst_unused:UNUSED_PAD src0_sel:WORD_1 src1_sel:DWORD
	ds_read2_b32 v[87:88], v63 offset0:94 offset1:149
	v_fma_f16 v10, v10, v126, -v78
	v_mul_f16_sdwa v78, v11, v135 dst_sel:DWORD dst_unused:UNUSED_PAD src0_sel:WORD_1 src1_sel:DWORD
	s_waitcnt lgkmcnt(1)
	v_lshrrev_b32_e32 v137, 16, v85
	v_fma_f16 v78, v11, v83, v78
	v_mul_f16_sdwa v83, v11, v83 dst_sel:DWORD dst_unused:UNUSED_PAD src0_sel:WORD_1 src1_sel:DWORD
	v_fma_f16 v11, v11, v135, -v83
	v_mul_f16_sdwa v83, v12, v137 dst_sel:DWORD dst_unused:UNUSED_PAD src0_sel:WORD_1 src1_sel:DWORD
	v_lshrrev_b32_e32 v138, 16, v82
	v_fma_f16 v83, v12, v85, v83
	v_mul_f16_sdwa v85, v12, v85 dst_sel:DWORD dst_unused:UNUSED_PAD src0_sel:WORD_1 src1_sel:DWORD
	v_fma_f16 v12, v12, v137, -v85
	v_mul_f16_sdwa v85, v13, v138 dst_sel:DWORD dst_unused:UNUSED_PAD src0_sel:WORD_1 src1_sel:DWORD
	s_waitcnt lgkmcnt(0)
	v_lshrrev_b32_e32 v139, 16, v87
	v_fma_f16 v85, v13, v82, v85
	v_mul_f16_sdwa v82, v13, v82 dst_sel:DWORD dst_unused:UNUSED_PAD src0_sel:WORD_1 src1_sel:DWORD
	v_fma_f16 v13, v13, v138, -v82
	v_mul_f16_sdwa v82, v14, v139 dst_sel:DWORD dst_unused:UNUSED_PAD src0_sel:WORD_1 src1_sel:DWORD
	v_lshrrev_b32_e32 v140, 16, v84
	v_fma_f16 v82, v14, v87, v82
	v_mul_f16_sdwa v87, v14, v87 dst_sel:DWORD dst_unused:UNUSED_PAD src0_sel:WORD_1 src1_sel:DWORD
	v_fma_f16 v14, v14, v139, -v87
	v_mul_f16_sdwa v87, v15, v140 dst_sel:DWORD dst_unused:UNUSED_PAD src0_sel:WORD_1 src1_sel:DWORD
	ds_read2_b32 v[65:66], v91 offset1:55
	v_lshrrev_b32_e32 v143, 16, v86
	v_fma_f16 v87, v15, v84, v87
	v_mul_f16_sdwa v84, v15, v84 dst_sel:DWORD dst_unused:UNUSED_PAD src0_sel:WORD_1 src1_sel:DWORD
	ds_read_b32 v141, v91 offset:5280
	v_fma_f16 v15, v15, v140, -v84
	v_mul_f16_sdwa v84, v16, v143 dst_sel:DWORD dst_unused:UNUSED_PAD src0_sel:WORD_1 src1_sel:DWORD
	v_lshrrev_b32_e32 v144, 16, v71
	v_fma_f16 v84, v16, v86, v84
	v_mul_f16_sdwa v86, v16, v86 dst_sel:DWORD dst_unused:UNUSED_PAD src0_sel:WORD_1 src1_sel:DWORD
	v_fma_f16 v16, v16, v143, -v86
	v_mul_f16_sdwa v86, v17, v144 dst_sel:DWORD dst_unused:UNUSED_PAD src0_sel:WORD_1 src1_sel:DWORD
	v_lshrrev_b32_e32 v145, 16, v88
	v_fma_f16 v86, v17, v71, v86
	v_mul_f16_sdwa v71, v17, v71 dst_sel:DWORD dst_unused:UNUSED_PAD src0_sel:WORD_1 src1_sel:DWORD
	v_add_f16_e32 v115, v68, v69
	v_fma_f16 v17, v17, v144, -v71
	v_mul_f16_sdwa v71, v18, v145 dst_sel:DWORD dst_unused:UNUSED_PAD src0_sel:WORD_1 src1_sel:DWORD
	s_waitcnt lgkmcnt(1)
	v_fma_f16 v115, v115, -0.5, v65
	v_sub_f16_e32 v116, v0, v3
	s_mov_b32 s1, 0xbb9c
	s_movk_i32 s3, 0x3b9c
	s_waitcnt lgkmcnt(0)
	v_lshrrev_b32_e32 v146, 16, v141
	v_fma_f16 v71, v18, v88, v71
	v_mul_f16_sdwa v88, v18, v88 dst_sel:DWORD dst_unused:UNUSED_PAD src0_sel:WORD_1 src1_sel:DWORD
	v_fma_f16 v117, v116, s1, v115
	v_sub_f16_e32 v119, v1, v2
	s_mov_b32 s0, 0xb8b4
	v_sub_f16_e32 v120, v147, v68
	v_sub_f16_e32 v121, v72, v69
	v_fma_f16 v115, v116, s3, v115
	s_movk_i32 s4, 0x38b4
	v_fma_f16 v18, v18, v145, -v88
	v_mul_f16_sdwa v88, v19, v146 dst_sel:DWORD dst_unused:UNUSED_PAD src0_sel:WORD_1 src1_sel:DWORD
	v_mul_f16_sdwa v90, v19, v141 dst_sel:DWORD dst_unused:UNUSED_PAD src0_sel:WORD_1 src1_sel:DWORD
	v_fma_f16 v117, v119, s0, v117
	v_add_f16_e32 v120, v120, v121
	s_movk_i32 s2, 0x34f2
	v_fma_f16 v115, v119, s4, v115
	v_fma_f16 v88, v19, v141, v88
	v_fma_f16 v19, v19, v146, -v90
	v_add_f16_e32 v90, v65, v147
	v_fma_f16 v117, v120, s2, v117
	v_fma_f16 v115, v120, s2, v115
	v_add_f16_e32 v120, v147, v72
	v_lshrrev_b32_e32 v89, 16, v65
	v_add_f16_e32 v90, v90, v68
	v_fma_f16 v65, v120, -0.5, v65
	v_add_f16_e32 v90, v90, v69
	v_fma_f16 v120, v119, s3, v65
	v_sub_f16_e32 v121, v68, v147
	v_sub_f16_e32 v122, v69, v72
	v_fma_f16 v65, v119, s1, v65
	v_add_f16_e32 v119, v1, v2
	v_add_f16_e32 v90, v90, v72
	v_fma_f16 v120, v116, s0, v120
	v_add_f16_e32 v121, v121, v122
	v_fma_f16 v65, v116, s4, v65
	v_fma_f16 v119, v119, -0.5, v89
	v_sub_f16_e32 v72, v147, v72
	v_fma_f16 v120, v121, s2, v120
	v_fma_f16 v65, v121, s2, v65
	;; [unrolled: 1-line block ×3, first 2 shown]
	v_sub_f16_e32 v68, v68, v69
	v_fma_f16 v69, v68, s4, v121
	v_sub_f16_e32 v121, v0, v1
	v_sub_f16_e32 v122, v3, v2
	v_fma_f16 v119, v72, s1, v119
	v_add_f16_e32 v116, v89, v0
	v_add_f16_e32 v121, v121, v122
	v_fma_f16 v119, v68, s0, v119
	v_add_f16_e32 v116, v116, v1
	v_fma_f16 v69, v121, s2, v69
	v_fma_f16 v119, v121, s2, v119
	v_add_f16_e32 v121, v0, v3
	v_add_f16_e32 v116, v116, v2
	v_fma_f16 v89, v121, -0.5, v89
	v_add_f16_e32 v116, v116, v3
	v_fma_f16 v121, v68, s1, v89
	v_sub_f16_e32 v0, v1, v0
	v_sub_f16_e32 v1, v2, v3
	v_add_f16_e32 v3, v75, v70
	v_fma_f16 v121, v72, s4, v121
	v_add_f16_e32 v0, v0, v1
	v_fma_f16 v2, v68, s3, v89
	v_fma_f16 v3, v3, -0.5, v66
	v_sub_f16_e32 v68, v4, v7
	v_fma_f16 v1, v0, s2, v121
	v_fma_f16 v2, v72, s0, v2
	;; [unrolled: 1-line block ×3, first 2 shown]
	v_sub_f16_e32 v89, v5, v6
	v_sub_f16_e32 v121, v73, v75
	;; [unrolled: 1-line block ×3, first 2 shown]
	v_fma_f16 v3, v68, s3, v3
	v_fma_f16 v72, v89, s0, v72
	v_add_f16_e32 v121, v121, v122
	v_fma_f16 v3, v89, s4, v3
	v_fma_f16 v72, v121, s2, v72
	;; [unrolled: 1-line block ×3, first 2 shown]
	v_add_f16_e32 v121, v73, v77
	v_lshrrev_b32_e32 v118, 16, v66
	v_fma_f16 v0, v0, s2, v2
	v_add_f16_e32 v2, v66, v73
	v_fma_f16 v66, v121, -0.5, v66
	v_add_f16_e32 v2, v2, v75
	v_fma_f16 v121, v89, s3, v66
	v_fma_f16 v66, v89, s1, v66
	v_add_f16_e32 v89, v5, v6
	v_add_f16_e32 v2, v2, v70
	v_sub_f16_e32 v122, v75, v73
	v_sub_f16_e32 v124, v70, v77
	v_fma_f16 v89, v89, -0.5, v118
	v_sub_f16_e32 v73, v73, v77
	v_add_f16_e32 v2, v2, v77
	v_fma_f16 v121, v68, s0, v121
	v_add_f16_e32 v122, v122, v124
	v_fma_f16 v66, v68, s4, v66
	v_fma_f16 v77, v73, s3, v89
	v_sub_f16_e32 v70, v75, v70
	ds_read2_b32 v[79:80], v91 offset0:110 offset1:165
	v_fma_f16 v121, v122, s2, v121
	v_fma_f16 v66, v122, s2, v66
	;; [unrolled: 1-line block ×3, first 2 shown]
	v_sub_f16_e32 v77, v4, v5
	v_sub_f16_e32 v122, v7, v6
	v_fma_f16 v89, v73, s1, v89
	v_add_f16_e32 v68, v118, v4
	v_add_f16_e32 v77, v77, v122
	v_fma_f16 v89, v70, s0, v89
	v_add_f16_e32 v68, v68, v5
	v_fma_f16 v75, v77, s2, v75
	v_fma_f16 v77, v77, s2, v89
	v_add_f16_e32 v89, v4, v7
	v_add_f16_e32 v68, v68, v6
	v_fma_f16 v89, v89, -0.5, v118
	v_add_f16_e32 v68, v68, v7
	v_fma_f16 v118, v70, s1, v89
	v_sub_f16_e32 v4, v5, v4
	v_sub_f16_e32 v5, v6, v7
	v_add_f16_e32 v7, v76, v81
	v_fma_f16 v118, v73, s4, v118
	v_add_f16_e32 v4, v4, v5
	v_fma_f16 v6, v70, s3, v89
	s_waitcnt lgkmcnt(0)
	v_fma_f16 v7, v7, -0.5, v79
	v_sub_f16_e32 v70, v8, v11
	v_fma_f16 v5, v4, s2, v118
	v_fma_f16 v6, v73, s0, v6
	;; [unrolled: 1-line block ×3, first 2 shown]
	v_sub_f16_e32 v89, v9, v10
	v_sub_f16_e32 v118, v74, v76
	;; [unrolled: 1-line block ×3, first 2 shown]
	v_fma_f16 v7, v70, s3, v7
	v_fma_f16 v73, v89, s0, v73
	v_add_f16_e32 v118, v118, v122
	v_fma_f16 v7, v89, s4, v7
	v_fma_f16 v73, v118, s2, v73
	;; [unrolled: 1-line block ×3, first 2 shown]
	v_add_f16_e32 v118, v74, v78
	v_lshrrev_b32_e32 v123, 16, v79
	v_fma_f16 v4, v4, s2, v6
	v_add_f16_e32 v6, v79, v74
	v_fma_f16 v79, v118, -0.5, v79
	v_add_f16_e32 v6, v6, v76
	v_fma_f16 v118, v89, s3, v79
	v_sub_f16_e32 v122, v76, v74
	v_sub_f16_e32 v124, v81, v78
	v_fma_f16 v79, v89, s1, v79
	v_add_f16_e32 v89, v9, v10
	v_add_f16_e32 v6, v6, v81
	v_fma_f16 v118, v70, s0, v118
	v_add_f16_e32 v122, v122, v124
	v_fma_f16 v70, v70, s4, v79
	v_fma_f16 v89, v89, -0.5, v123
	v_sub_f16_e32 v74, v74, v78
	v_add_f16_e32 v6, v6, v78
	v_fma_f16 v118, v122, s2, v118
	v_fma_f16 v70, v122, s2, v70
	;; [unrolled: 1-line block ×3, first 2 shown]
	v_sub_f16_e32 v76, v76, v81
	v_sub_f16_e32 v81, v8, v9
	;; [unrolled: 1-line block ×3, first 2 shown]
	v_fma_f16 v89, v74, s1, v89
	v_add_f16_e32 v79, v123, v8
	v_fma_f16 v78, v76, s4, v78
	v_add_f16_e32 v81, v81, v122
	;; [unrolled: 2-line block ×3, first 2 shown]
	v_fma_f16 v78, v81, s2, v78
	v_fma_f16 v81, v81, s2, v89
	v_add_f16_e32 v89, v8, v11
	v_add_f16_e32 v79, v79, v10
	v_fma_f16 v89, v89, -0.5, v123
	v_add_f16_e32 v79, v79, v11
	v_fma_f16 v122, v76, s1, v89
	v_sub_f16_e32 v8, v9, v8
	v_sub_f16_e32 v9, v10, v11
	v_fma_f16 v10, v76, s3, v89
	v_add_f16_e32 v11, v85, v82
	v_fma_f16 v122, v74, s4, v122
	v_add_f16_e32 v8, v8, v9
	v_fma_f16 v10, v74, s0, v10
	v_fma_f16 v11, v11, -0.5, v80
	v_sub_f16_e32 v74, v12, v15
	v_fma_f16 v9, v8, s2, v122
	v_fma_f16 v76, v74, s1, v11
	v_sub_f16_e32 v89, v13, v14
	v_sub_f16_e32 v122, v83, v85
	;; [unrolled: 1-line block ×3, first 2 shown]
	v_fma_f16 v11, v74, s3, v11
	v_fma_f16 v76, v89, s0, v76
	v_add_f16_e32 v122, v122, v123
	v_fma_f16 v11, v89, s4, v11
	v_fma_f16 v76, v122, s2, v76
	v_fma_f16 v11, v122, s2, v11
	v_add_f16_e32 v122, v83, v87
	v_lshrrev_b32_e32 v136, 16, v80
	v_fma_f16 v8, v8, s2, v10
	v_add_f16_e32 v10, v80, v83
	v_fma_f16 v80, v122, -0.5, v80
	v_add_f16_e32 v10, v10, v85
	v_fma_f16 v122, v89, s3, v80
	v_fma_f16 v80, v89, s1, v80
	v_add_f16_e32 v89, v13, v14
	v_add_f16_e32 v10, v10, v82
	v_sub_f16_e32 v123, v85, v83
	v_sub_f16_e32 v124, v82, v87
	v_fma_f16 v89, v89, -0.5, v136
	v_sub_f16_e32 v83, v83, v87
	v_add_f16_e32 v10, v10, v87
	v_fma_f16 v122, v74, s0, v122
	v_add_f16_e32 v123, v123, v124
	v_fma_f16 v74, v74, s4, v80
	v_fma_f16 v87, v83, s3, v89
	v_sub_f16_e32 v82, v85, v82
	v_fma_f16 v122, v123, s2, v122
	v_fma_f16 v74, v123, s2, v74
	;; [unrolled: 1-line block ×3, first 2 shown]
	v_sub_f16_e32 v87, v12, v13
	v_sub_f16_e32 v123, v15, v14
	v_fma_f16 v89, v83, s1, v89
	v_add_f16_e32 v80, v136, v12
	v_add_f16_e32 v87, v87, v123
	v_fma_f16 v89, v82, s0, v89
	v_add_f16_e32 v80, v80, v13
	v_fma_f16 v85, v87, s2, v85
	v_fma_f16 v87, v87, s2, v89
	v_add_f16_e32 v89, v12, v15
	v_add_f16_e32 v80, v80, v14
	v_fma_f16 v89, v89, -0.5, v136
	v_add_f16_e32 v80, v80, v15
	v_fma_f16 v123, v82, s1, v89
	v_sub_f16_e32 v12, v13, v12
	v_sub_f16_e32 v13, v14, v15
	v_add_f16_e32 v15, v86, v71
	v_fma_f16 v123, v83, s4, v123
	v_add_f16_e32 v12, v12, v13
	v_fma_f16 v14, v82, s3, v89
	v_fma_f16 v15, v15, -0.5, v67
	v_sub_f16_e32 v82, v16, v19
	v_fma_f16 v13, v12, s2, v123
	v_fma_f16 v14, v83, s0, v14
	;; [unrolled: 1-line block ×3, first 2 shown]
	v_sub_f16_e32 v89, v17, v18
	v_sub_f16_e32 v123, v84, v86
	v_sub_f16_e32 v124, v88, v71
	v_fma_f16 v15, v82, s3, v15
	v_fma_f16 v83, v89, s0, v83
	v_add_f16_e32 v123, v123, v124
	v_fma_f16 v15, v89, s4, v15
	v_fma_f16 v83, v123, s2, v83
	;; [unrolled: 1-line block ×3, first 2 shown]
	v_add_f16_e32 v123, v84, v88
	v_lshrrev_b32_e32 v142, 16, v67
	v_fma_f16 v12, v12, s2, v14
	v_add_f16_e32 v14, v67, v84
	v_fma_f16 v67, v123, -0.5, v67
	v_add_f16_e32 v14, v14, v86
	v_fma_f16 v123, v89, s3, v67
	v_fma_f16 v67, v89, s1, v67
	v_add_f16_e32 v89, v17, v18
	v_add_f16_e32 v14, v14, v71
	v_sub_f16_e32 v124, v86, v84
	v_sub_f16_e32 v125, v71, v88
	v_fma_f16 v89, v89, -0.5, v142
	v_sub_f16_e32 v84, v84, v88
	v_add_f16_e32 v14, v14, v88
	v_fma_f16 v123, v82, s0, v123
	v_add_f16_e32 v124, v124, v125
	v_fma_f16 v67, v82, s4, v67
	v_fma_f16 v88, v84, s3, v89
	v_sub_f16_e32 v71, v86, v71
	v_fma_f16 v123, v124, s2, v123
	v_fma_f16 v67, v124, s2, v67
	;; [unrolled: 1-line block ×3, first 2 shown]
	v_sub_f16_e32 v88, v16, v17
	v_sub_f16_e32 v124, v19, v18
	v_fma_f16 v89, v84, s1, v89
	v_add_f16_e32 v88, v88, v124
	v_fma_f16 v89, v71, s0, v89
	v_add_f16_e32 v82, v142, v16
	v_fma_f16 v86, v88, s2, v86
	v_fma_f16 v88, v88, s2, v89
	v_add_f16_e32 v89, v16, v19
	v_add_f16_e32 v82, v82, v17
	v_fma_f16 v89, v89, -0.5, v142
	v_add_f16_e32 v82, v82, v18
	v_fma_f16 v124, v71, s1, v89
	v_sub_f16_e32 v16, v17, v16
	v_sub_f16_e32 v17, v18, v19
	v_fma_f16 v18, v71, s3, v89
	v_pack_b32_f16 v1, v120, v1
	v_pack_b32_f16 v0, v65, v0
	v_fma_f16 v124, v84, s4, v124
	v_add_f16_e32 v16, v16, v17
	v_fma_f16 v18, v84, s0, v18
	s_waitcnt lgkmcnt(0)
	; wave barrier
	ds_write2_b32 v127, v1, v0 offset0:22 offset1:33
	v_pack_b32_f16 v0, v115, v119
	v_add_f16_e32 v82, v82, v19
	v_fma_f16 v17, v16, s2, v124
	v_fma_f16 v16, v16, s2, v18
	v_pack_b32_f16 v18, v90, v116
	v_pack_b32_f16 v19, v117, v69
	ds_write_b32 v127, v0 offset:176
	v_pack_b32_f16 v0, v2, v68
	v_pack_b32_f16 v1, v72, v75
	ds_write2_b32 v127, v18, v19 offset1:11
	ds_write2_b32 v128, v0, v1 offset1:11
	v_pack_b32_f16 v0, v121, v5
	v_pack_b32_f16 v1, v66, v4
	ds_write2_b32 v128, v0, v1 offset0:22 offset1:33
	v_pack_b32_f16 v0, v3, v77
	ds_write_b32 v128, v0 offset:176
	v_pack_b32_f16 v0, v6, v79
	v_pack_b32_f16 v1, v73, v78
	ds_write2_b32 v129, v0, v1 offset1:11
	v_pack_b32_f16 v0, v118, v9
	v_pack_b32_f16 v1, v70, v8
	ds_write2_b32 v129, v0, v1 offset0:22 offset1:33
	v_pack_b32_f16 v0, v7, v81
	ds_write_b32 v129, v0 offset:176
	v_pack_b32_f16 v0, v10, v80
	v_pack_b32_f16 v1, v76, v85
	ds_write2_b32 v130, v0, v1 offset1:11
	v_pack_b32_f16 v0, v122, v13
	v_pack_b32_f16 v1, v74, v12
	ds_write2_b32 v130, v0, v1 offset0:22 offset1:33
	v_pack_b32_f16 v0, v11, v87
	ds_write_b32 v130, v0 offset:176
	v_pack_b32_f16 v0, v14, v82
	v_pack_b32_f16 v1, v83, v86
	ds_write2_b32 v131, v0, v1 offset1:11
	v_pack_b32_f16 v0, v123, v17
	v_pack_b32_f16 v1, v67, v16
	ds_write2_b32 v131, v0, v1 offset0:22 offset1:33
	v_pack_b32_f16 v0, v15, v88
	ds_write_b32 v131, v0 offset:176
	s_waitcnt lgkmcnt(0)
	; wave barrier
	s_waitcnt lgkmcnt(0)
	ds_read2_b32 v[0:1], v91 offset1:55
	ds_read2_b32 v[2:3], v64 offset0:92 offset1:147
	ds_read2_b32 v[4:5], v61 offset0:38 offset1:93
	;; [unrolled: 1-line block ×6, first 2 shown]
	s_waitcnt lgkmcnt(5)
	v_lshrrev_b32_e32 v70, 16, v3
	v_mul_f16_sdwa v119, v20, v70 dst_sel:DWORD dst_unused:UNUSED_PAD src0_sel:WORD_1 src1_sel:DWORD
	s_waitcnt lgkmcnt(4)
	v_lshrrev_b32_e32 v71, 16, v4
	v_fma_f16 v119, v20, v3, v119
	v_mul_f16_sdwa v3, v20, v3 dst_sel:DWORD dst_unused:UNUSED_PAD src0_sel:WORD_1 src1_sel:DWORD
	v_fma_f16 v3, v20, v70, -v3
	v_mul_f16_sdwa v70, v21, v71 dst_sel:DWORD dst_unused:UNUSED_PAD src0_sel:WORD_1 src1_sel:DWORD
	s_waitcnt lgkmcnt(3)
	v_lshrrev_b32_e32 v72, 16, v7
	v_fma_f16 v70, v21, v4, v70
	v_mul_f16_sdwa v4, v21, v4 dst_sel:DWORD dst_unused:UNUSED_PAD src0_sel:WORD_1 src1_sel:DWORD
	v_fma_f16 v4, v21, v71, -v4
	;; [unrolled: 6-line block ×4, first 2 shown]
	v_mul_f16_sdwa v73, v20, v75 dst_sel:DWORD dst_unused:UNUSED_PAD src0_sel:WORD_1 src1_sel:DWORD
	v_lshrrev_b32_e32 v76, 16, v5
	v_fma_f16 v73, v20, v10, v73
	v_mul_f16_sdwa v10, v20, v10 dst_sel:DWORD dst_unused:UNUSED_PAD src0_sel:WORD_1 src1_sel:DWORD
	v_fma_f16 v10, v20, v75, -v10
	v_mul_f16_sdwa v20, v21, v76 dst_sel:DWORD dst_unused:UNUSED_PAD src0_sel:WORD_1 src1_sel:DWORD
	s_waitcnt lgkmcnt(0)
	v_lshrrev_b32_e32 v77, 16, v12
	v_fma_f16 v20, v21, v5, v20
	v_mul_f16_sdwa v5, v21, v5 dst_sel:DWORD dst_unused:UNUSED_PAD src0_sel:WORD_1 src1_sel:DWORD
	ds_read2_b32 v[16:17], v61 offset0:148 offset1:203
	v_fma_f16 v5, v21, v76, -v5
	v_mul_f16_sdwa v21, v22, v77 dst_sel:DWORD dst_unused:UNUSED_PAD src0_sel:WORD_1 src1_sel:DWORD
	v_lshrrev_b32_e32 v78, 16, v9
	v_fma_f16 v21, v22, v12, v21
	v_mul_f16_sdwa v12, v22, v12 dst_sel:DWORD dst_unused:UNUSED_PAD src0_sel:WORD_1 src1_sel:DWORD
	v_fma_f16 v12, v22, v77, -v12
	v_mul_f16_sdwa v22, v23, v78 dst_sel:DWORD dst_unused:UNUSED_PAD src0_sel:WORD_1 src1_sel:DWORD
	v_lshrrev_b32_e32 v80, 16, v11
	v_fma_f16 v22, v23, v9, v22
	v_mul_f16_sdwa v9, v23, v9 dst_sel:DWORD dst_unused:UNUSED_PAD src0_sel:WORD_1 src1_sel:DWORD
	ds_read2_b32 v[18:19], v59 offset0:186 offset1:241
	v_fma_f16 v9, v23, v78, -v9
	v_mul_f16_sdwa v23, v24, v80 dst_sel:DWORD dst_unused:UNUSED_PAD src0_sel:WORD_1 src1_sel:DWORD
	s_waitcnt lgkmcnt(1)
	v_lshrrev_b32_e32 v81, 16, v16
	v_fma_f16 v23, v24, v11, v23
	v_mul_f16_sdwa v11, v24, v11 dst_sel:DWORD dst_unused:UNUSED_PAD src0_sel:WORD_1 src1_sel:DWORD
	ds_read2_b32 v[65:66], v62 offset0:184 offset1:239
	v_fma_f16 v11, v24, v80, -v11
	v_mul_f16_sdwa v24, v25, v81 dst_sel:DWORD dst_unused:UNUSED_PAD src0_sel:WORD_1 src1_sel:DWORD
	v_lshrrev_b32_e32 v82, 16, v13
	v_fma_f16 v24, v25, v16, v24
	v_mul_f16_sdwa v16, v25, v16 dst_sel:DWORD dst_unused:UNUSED_PAD src0_sel:WORD_1 src1_sel:DWORD
	v_fma_f16 v16, v25, v81, -v16
	v_mul_f16_sdwa v25, v26, v82 dst_sel:DWORD dst_unused:UNUSED_PAD src0_sel:WORD_1 src1_sel:DWORD
	s_waitcnt lgkmcnt(1)
	v_lshrrev_b32_e32 v83, 16, v18
	v_fma_f16 v25, v26, v13, v25
	v_mul_f16_sdwa v13, v26, v13 dst_sel:DWORD dst_unused:UNUSED_PAD src0_sel:WORD_1 src1_sel:DWORD
	ds_read2_b32 v[67:68], v63 offset0:94 offset1:149
	v_fma_f16 v13, v26, v82, -v13
	v_mul_f16_sdwa v26, v27, v83 dst_sel:DWORD dst_unused:UNUSED_PAD src0_sel:WORD_1 src1_sel:DWORD
	s_waitcnt lgkmcnt(1)
	v_lshrrev_b32_e32 v85, 16, v65
	v_fma_f16 v26, v27, v18, v26
	v_mul_f16_sdwa v18, v27, v18 dst_sel:DWORD dst_unused:UNUSED_PAD src0_sel:WORD_1 src1_sel:DWORD
	v_fma_f16 v18, v27, v83, -v18
	v_mul_f16_sdwa v27, v28, v85 dst_sel:DWORD dst_unused:UNUSED_PAD src0_sel:WORD_1 src1_sel:DWORD
	v_lshrrev_b32_e32 v86, 16, v17
	v_fma_f16 v27, v28, v65, v27
	v_mul_f16_sdwa v65, v28, v65 dst_sel:DWORD dst_unused:UNUSED_PAD src0_sel:WORD_1 src1_sel:DWORD
	v_fma_f16 v28, v28, v85, -v65
	v_mul_f16_sdwa v65, v29, v86 dst_sel:DWORD dst_unused:UNUSED_PAD src0_sel:WORD_1 src1_sel:DWORD
	s_waitcnt lgkmcnt(0)
	v_lshrrev_b32_e32 v87, 16, v67
	v_fma_f16 v65, v29, v17, v65
	v_mul_f16_sdwa v17, v29, v17 dst_sel:DWORD dst_unused:UNUSED_PAD src0_sel:WORD_1 src1_sel:DWORD
	v_fma_f16 v17, v29, v86, -v17
	v_mul_f16_sdwa v29, v30, v87 dst_sel:DWORD dst_unused:UNUSED_PAD src0_sel:WORD_1 src1_sel:DWORD
	v_lshrrev_b32_e32 v88, 16, v19
	v_fma_f16 v29, v30, v67, v29
	v_mul_f16_sdwa v67, v30, v67 dst_sel:DWORD dst_unused:UNUSED_PAD src0_sel:WORD_1 src1_sel:DWORD
	v_fma_f16 v30, v30, v87, -v67
	v_mul_f16_sdwa v67, v31, v88 dst_sel:DWORD dst_unused:UNUSED_PAD src0_sel:WORD_1 src1_sel:DWORD
	v_lshrrev_b32_e32 v115, 16, v66
	v_fma_f16 v67, v31, v19, v67
	v_mul_f16_sdwa v19, v31, v19 dst_sel:DWORD dst_unused:UNUSED_PAD src0_sel:WORD_1 src1_sel:DWORD
	ds_read_b32 v89, v91 offset:5280
	v_fma_f16 v19, v31, v88, -v19
	v_mul_f16_sdwa v31, v32, v115 dst_sel:DWORD dst_unused:UNUSED_PAD src0_sel:WORD_1 src1_sel:DWORD
	v_lshrrev_b32_e32 v116, 16, v6
	v_fma_f16 v31, v32, v66, v31
	v_mul_f16_sdwa v66, v32, v66 dst_sel:DWORD dst_unused:UNUSED_PAD src0_sel:WORD_1 src1_sel:DWORD
	v_fma_f16 v32, v32, v115, -v66
	v_mul_f16_sdwa v66, v33, v116 dst_sel:DWORD dst_unused:UNUSED_PAD src0_sel:WORD_1 src1_sel:DWORD
	v_lshrrev_b32_e32 v117, 16, v68
	v_fma_f16 v66, v33, v6, v66
	v_mul_f16_sdwa v6, v33, v6 dst_sel:DWORD dst_unused:UNUSED_PAD src0_sel:WORD_1 src1_sel:DWORD
	v_add_f16_e32 v76, v70, v71
	v_fma_f16 v6, v33, v116, -v6
	v_mul_f16_sdwa v33, v34, v117 dst_sel:DWORD dst_unused:UNUSED_PAD src0_sel:WORD_1 src1_sel:DWORD
	v_fma_f16 v76, v76, -0.5, v0
	v_sub_f16_e32 v77, v3, v8
	s_waitcnt lgkmcnt(0)
	v_lshrrev_b32_e32 v118, 16, v89
	v_fma_f16 v33, v34, v68, v33
	v_mul_f16_sdwa v68, v34, v68 dst_sel:DWORD dst_unused:UNUSED_PAD src0_sel:WORD_1 src1_sel:DWORD
	v_fma_f16 v78, v77, s1, v76
	v_sub_f16_e32 v80, v4, v7
	v_sub_f16_e32 v81, v119, v70
	;; [unrolled: 1-line block ×3, first 2 shown]
	v_fma_f16 v76, v77, s3, v76
	v_fma_f16 v34, v34, v117, -v68
	v_mul_f16_sdwa v68, v35, v118 dst_sel:DWORD dst_unused:UNUSED_PAD src0_sel:WORD_1 src1_sel:DWORD
	v_mul_f16_sdwa v75, v35, v89 dst_sel:DWORD dst_unused:UNUSED_PAD src0_sel:WORD_1 src1_sel:DWORD
	v_fma_f16 v78, v80, s0, v78
	v_add_f16_e32 v81, v81, v82
	v_fma_f16 v76, v80, s4, v76
	v_fma_f16 v68, v35, v89, v68
	v_fma_f16 v35, v35, v118, -v75
	v_add_f16_e32 v75, v0, v119
	v_fma_f16 v78, v81, s2, v78
	v_fma_f16 v76, v81, s2, v76
	v_add_f16_e32 v81, v119, v72
	v_lshrrev_b32_e32 v69, 16, v0
	v_add_f16_e32 v75, v75, v70
	v_fma_f16 v0, v81, -0.5, v0
	v_add_f16_e32 v75, v75, v71
	v_fma_f16 v81, v80, s3, v0
	v_sub_f16_e32 v82, v70, v119
	v_sub_f16_e32 v83, v71, v72
	v_fma_f16 v0, v80, s1, v0
	v_add_f16_e32 v80, v4, v7
	v_add_f16_e32 v75, v75, v72
	v_fma_f16 v81, v77, s0, v81
	v_add_f16_e32 v82, v82, v83
	v_fma_f16 v0, v77, s4, v0
	v_fma_f16 v80, v80, -0.5, v69
	v_sub_f16_e32 v72, v119, v72
	v_fma_f16 v81, v82, s2, v81
	v_fma_f16 v0, v82, s2, v0
	;; [unrolled: 1-line block ×3, first 2 shown]
	v_sub_f16_e32 v70, v70, v71
	v_fma_f16 v71, v70, s4, v82
	v_sub_f16_e32 v82, v3, v4
	v_sub_f16_e32 v83, v8, v7
	v_fma_f16 v80, v72, s1, v80
	v_add_f16_e32 v77, v69, v3
	v_add_f16_e32 v82, v82, v83
	v_fma_f16 v80, v70, s0, v80
	v_add_f16_e32 v77, v77, v4
	v_fma_f16 v71, v82, s2, v71
	v_fma_f16 v80, v82, s2, v80
	v_add_f16_e32 v82, v3, v8
	v_add_f16_e32 v77, v77, v7
	v_fma_f16 v69, v82, -0.5, v69
	v_add_f16_e32 v77, v77, v8
	v_fma_f16 v82, v70, s1, v69
	v_sub_f16_e32 v3, v4, v3
	v_sub_f16_e32 v4, v7, v8
	v_add_f16_e32 v8, v20, v21
	v_fma_f16 v82, v72, s4, v82
	v_add_f16_e32 v3, v3, v4
	v_fma_f16 v7, v70, s3, v69
	v_fma_f16 v8, v8, -0.5, v1
	v_sub_f16_e32 v69, v10, v9
	v_fma_f16 v4, v3, s2, v82
	v_fma_f16 v7, v72, s0, v7
	;; [unrolled: 1-line block ×3, first 2 shown]
	v_sub_f16_e32 v72, v5, v12
	v_sub_f16_e32 v82, v73, v20
	;; [unrolled: 1-line block ×3, first 2 shown]
	v_fma_f16 v8, v69, s3, v8
	v_fma_f16 v70, v72, s0, v70
	v_add_f16_e32 v82, v82, v83
	v_fma_f16 v8, v72, s4, v8
	v_fma_f16 v3, v3, s2, v7
	v_add_f16_e32 v7, v1, v73
	;; [unrolled: 3-line block ×3, first 2 shown]
	v_lshrrev_b32_e32 v74, 16, v1
	v_add_f16_e32 v7, v7, v20
	v_fma_f16 v1, v82, -0.5, v1
	v_add_f16_e32 v7, v7, v21
	v_fma_f16 v82, v72, s3, v1
	v_fma_f16 v1, v72, s1, v1
	v_add_f16_e32 v72, v5, v12
	v_add_f16_e32 v7, v7, v22
	v_sub_f16_e32 v83, v20, v73
	v_sub_f16_e32 v85, v21, v22
	v_fma_f16 v72, v72, -0.5, v74
	v_sub_f16_e32 v22, v73, v22
	v_fma_f16 v82, v69, s0, v82
	v_add_f16_e32 v83, v83, v85
	v_fma_f16 v1, v69, s4, v1
	v_fma_f16 v73, v22, s3, v72
	v_sub_f16_e32 v20, v20, v21
	ds_read2_b32 v[14:15], v91 offset0:110 offset1:165
	v_fma_f16 v82, v83, s2, v82
	v_fma_f16 v1, v83, s2, v1
	;; [unrolled: 1-line block ×3, first 2 shown]
	v_sub_f16_e32 v73, v10, v5
	v_sub_f16_e32 v83, v9, v12
	v_fma_f16 v72, v22, s1, v72
	v_add_f16_e32 v69, v74, v10
	v_add_f16_e32 v73, v73, v83
	v_fma_f16 v72, v20, s0, v72
	v_add_f16_e32 v69, v69, v5
	v_fma_f16 v21, v73, s2, v21
	v_fma_f16 v72, v73, s2, v72
	v_add_f16_e32 v73, v10, v9
	v_add_f16_e32 v69, v69, v12
	v_fma_f16 v73, v73, -0.5, v74
	v_add_f16_e32 v69, v69, v9
	v_fma_f16 v74, v20, s1, v73
	v_sub_f16_e32 v5, v5, v10
	v_sub_f16_e32 v9, v12, v9
	v_add_f16_e32 v12, v24, v25
	v_fma_f16 v74, v22, s4, v74
	v_add_f16_e32 v5, v5, v9
	v_fma_f16 v10, v20, s3, v73
	s_waitcnt lgkmcnt(0)
	v_fma_f16 v12, v12, -0.5, v14
	v_sub_f16_e32 v20, v11, v18
	v_fma_f16 v9, v5, s2, v74
	v_fma_f16 v10, v22, s0, v10
	;; [unrolled: 1-line block ×3, first 2 shown]
	v_sub_f16_e32 v73, v16, v13
	v_sub_f16_e32 v74, v23, v24
	;; [unrolled: 1-line block ×3, first 2 shown]
	v_fma_f16 v12, v20, s3, v12
	v_fma_f16 v22, v73, s0, v22
	v_add_f16_e32 v74, v74, v83
	v_fma_f16 v12, v73, s4, v12
	v_fma_f16 v22, v74, s2, v22
	;; [unrolled: 1-line block ×3, first 2 shown]
	v_add_f16_e32 v74, v23, v26
	v_lshrrev_b32_e32 v79, 16, v14
	v_fma_f16 v5, v5, s2, v10
	v_add_f16_e32 v10, v14, v23
	v_fma_f16 v14, v74, -0.5, v14
	v_add_f16_e32 v10, v10, v24
	v_fma_f16 v74, v73, s3, v14
	v_fma_f16 v14, v73, s1, v14
	v_add_f16_e32 v73, v16, v13
	v_add_f16_e32 v10, v10, v25
	v_sub_f16_e32 v83, v24, v23
	v_sub_f16_e32 v85, v25, v26
	v_fma_f16 v73, v73, -0.5, v79
	v_sub_f16_e32 v23, v23, v26
	v_add_f16_e32 v10, v10, v26
	v_fma_f16 v74, v20, s0, v74
	v_add_f16_e32 v83, v83, v85
	v_fma_f16 v14, v20, s4, v14
	v_fma_f16 v26, v23, s3, v73
	v_sub_f16_e32 v24, v24, v25
	v_fma_f16 v74, v83, s2, v74
	v_fma_f16 v14, v83, s2, v14
	;; [unrolled: 1-line block ×3, first 2 shown]
	v_sub_f16_e32 v26, v11, v16
	v_sub_f16_e32 v83, v18, v13
	v_fma_f16 v73, v23, s1, v73
	v_add_f16_e32 v20, v79, v11
	v_add_f16_e32 v26, v26, v83
	v_fma_f16 v73, v24, s0, v73
	v_add_f16_e32 v20, v20, v16
	v_fma_f16 v25, v26, s2, v25
	v_fma_f16 v26, v26, s2, v73
	v_add_f16_e32 v73, v11, v18
	v_add_f16_e32 v20, v20, v13
	v_fma_f16 v73, v73, -0.5, v79
	v_add_f16_e32 v20, v20, v18
	v_fma_f16 v79, v24, s1, v73
	v_sub_f16_e32 v11, v16, v11
	v_sub_f16_e32 v13, v13, v18
	v_fma_f16 v16, v24, s3, v73
	v_add_f16_e32 v18, v65, v29
	v_fma_f16 v79, v23, s4, v79
	v_add_f16_e32 v11, v11, v13
	v_fma_f16 v16, v23, s0, v16
	v_fma_f16 v18, v18, -0.5, v15
	v_sub_f16_e32 v23, v28, v19
	v_fma_f16 v13, v11, s2, v79
	v_fma_f16 v24, v23, s1, v18
	v_sub_f16_e32 v73, v17, v30
	v_sub_f16_e32 v79, v27, v65
	v_sub_f16_e32 v83, v67, v29
	v_fma_f16 v18, v23, s3, v18
	v_fma_f16 v24, v73, s0, v24
	v_add_f16_e32 v79, v79, v83
	v_fma_f16 v18, v73, s4, v18
	v_fma_f16 v24, v79, s2, v24
	;; [unrolled: 1-line block ×3, first 2 shown]
	v_add_f16_e32 v79, v27, v67
	v_lshrrev_b32_e32 v84, 16, v15
	v_fma_f16 v11, v11, s2, v16
	v_add_f16_e32 v16, v15, v27
	v_fma_f16 v15, v79, -0.5, v15
	v_add_f16_e32 v16, v16, v65
	v_fma_f16 v79, v73, s3, v15
	v_fma_f16 v15, v73, s1, v15
	v_add_f16_e32 v73, v17, v30
	v_add_f16_e32 v16, v16, v29
	v_sub_f16_e32 v83, v65, v27
	v_sub_f16_e32 v85, v29, v67
	v_fma_f16 v73, v73, -0.5, v84
	v_sub_f16_e32 v27, v27, v67
	v_add_f16_e32 v16, v16, v67
	v_fma_f16 v79, v23, s0, v79
	v_add_f16_e32 v83, v83, v85
	v_fma_f16 v15, v23, s4, v15
	v_fma_f16 v67, v27, s3, v73
	v_sub_f16_e32 v29, v65, v29
	v_fma_f16 v79, v83, s2, v79
	v_fma_f16 v15, v83, s2, v15
	;; [unrolled: 1-line block ×3, first 2 shown]
	v_sub_f16_e32 v67, v28, v17
	v_sub_f16_e32 v83, v19, v30
	v_fma_f16 v73, v27, s1, v73
	v_add_f16_e32 v67, v67, v83
	v_fma_f16 v73, v29, s0, v73
	v_add_f16_e32 v23, v84, v28
	v_fma_f16 v65, v67, s2, v65
	v_fma_f16 v67, v67, s2, v73
	v_add_f16_e32 v73, v28, v19
	v_add_f16_e32 v23, v23, v17
	v_fma_f16 v73, v73, -0.5, v84
	v_add_f16_e32 v23, v23, v30
	v_fma_f16 v83, v29, s1, v73
	v_sub_f16_e32 v17, v17, v28
	v_fma_f16 v28, v29, s3, v73
	v_add_f16_e32 v23, v23, v19
	v_fma_f16 v83, v27, s4, v83
	v_sub_f16_e32 v19, v30, v19
	v_fma_f16 v27, v27, s0, v28
	v_add_f16_e32 v28, v66, v33
	v_add_f16_e32 v17, v17, v19
	v_fma_f16 v28, v28, -0.5, v2
	v_sub_f16_e32 v29, v32, v35
	v_fma_f16 v19, v17, s2, v83
	v_fma_f16 v30, v29, s1, v28
	v_sub_f16_e32 v73, v6, v34
	v_sub_f16_e32 v83, v31, v66
	;; [unrolled: 1-line block ×3, first 2 shown]
	v_fma_f16 v28, v29, s3, v28
	v_fma_f16 v30, v73, s0, v30
	v_add_f16_e32 v83, v83, v84
	v_fma_f16 v28, v73, s4, v28
	v_fma_f16 v30, v83, s2, v30
	;; [unrolled: 1-line block ×3, first 2 shown]
	v_add_f16_e32 v83, v31, v68
	v_lshrrev_b32_e32 v90, 16, v2
	v_fma_f16 v17, v17, s2, v27
	v_add_f16_e32 v27, v2, v31
	v_fma_f16 v2, v83, -0.5, v2
	v_add_f16_e32 v27, v27, v66
	v_fma_f16 v83, v73, s3, v2
	v_fma_f16 v2, v73, s1, v2
	v_add_f16_e32 v73, v6, v34
	v_add_f16_e32 v27, v27, v33
	v_sub_f16_e32 v84, v66, v31
	v_sub_f16_e32 v85, v33, v68
	v_fma_f16 v73, v73, -0.5, v90
	v_sub_f16_e32 v31, v31, v68
	v_add_f16_e32 v27, v27, v68
	v_fma_f16 v83, v29, s0, v83
	v_add_f16_e32 v84, v84, v85
	v_fma_f16 v2, v29, s4, v2
	v_fma_f16 v68, v31, s3, v73
	v_sub_f16_e32 v33, v66, v33
	v_fma_f16 v83, v84, s2, v83
	v_fma_f16 v2, v84, s2, v2
	;; [unrolled: 1-line block ×3, first 2 shown]
	v_sub_f16_e32 v68, v32, v6
	v_sub_f16_e32 v84, v35, v34
	v_fma_f16 v73, v31, s1, v73
	v_add_f16_e32 v68, v68, v84
	v_fma_f16 v73, v33, s0, v73
	v_fma_f16 v66, v68, s2, v66
	v_fma_f16 v68, v68, s2, v73
	v_add_f16_e32 v73, v32, v35
	v_add_f16_e32 v29, v90, v32
	v_fma_f16 v73, v73, -0.5, v90
	v_add_f16_e32 v29, v29, v6
	v_fma_f16 v84, v33, s1, v73
	v_sub_f16_e32 v6, v6, v32
	v_sub_f16_e32 v32, v34, v35
	v_fma_f16 v33, v33, s3, v73
	v_fma_f16 v84, v31, s4, v84
	v_add_f16_e32 v6, v6, v32
	v_fma_f16 v31, v31, s0, v33
	v_fma_f16 v32, v6, s2, v84
	;; [unrolled: 1-line block ×3, first 2 shown]
	v_pack_b32_f16 v31, v75, v77
	v_pack_b32_f16 v33, v78, v71
	;; [unrolled: 1-line block ×4, first 2 shown]
	s_waitcnt lgkmcnt(0)
	; wave barrier
	ds_write2_b32 v91, v31, v33 offset1:55
	ds_write2_b32 v91, v4, v0 offset0:110 offset1:165
	v_pack_b32_f16 v0, v76, v80
	v_pack_b32_f16 v3, v7, v69
	ds_write2_b32 v64, v0, v3 offset0:92 offset1:147
	v_pack_b32_f16 v0, v70, v21
	v_pack_b32_f16 v3, v82, v9
	;; [unrolled: 3-line block ×4, first 2 shown]
	v_add_u32_e32 v3, 0x800, v132
	ds_write2_b32 v3, v0, v1 offset0:38 offset1:93
	v_pack_b32_f16 v0, v74, v13
	v_pack_b32_f16 v1, v14, v11
	ds_write2_b32 v3, v0, v1 offset0:148 offset1:203
	v_pack_b32_f16 v0, v12, v26
	ds_write_b32 v132, v0 offset:3080
	v_pack_b32_f16 v0, v16, v23
	v_pack_b32_f16 v1, v24, v65
	v_add_u32_e32 v3, 0xc00, v133
	v_add_f16_e32 v29, v29, v34
	ds_write2_b32 v3, v0, v1 offset0:57 offset1:112
	v_pack_b32_f16 v0, v79, v19
	v_pack_b32_f16 v1, v15, v17
	v_add_f16_e32 v29, v29, v35
	ds_write2_b32 v3, v0, v1 offset0:167 offset1:222
	v_pack_b32_f16 v0, v18, v67
	ds_write_b32 v133, v0 offset:4180
	v_pack_b32_f16 v0, v27, v29
	v_pack_b32_f16 v1, v30, v66
	v_add_u32_e32 v3, 0x1000, v134
	ds_write2_b32 v3, v0, v1 offset0:76 offset1:131
	v_pack_b32_f16 v0, v83, v32
	v_pack_b32_f16 v1, v2, v6
	ds_write2_b32 v3, v0, v1 offset0:186 offset1:241
	v_pack_b32_f16 v0, v28, v68
	ds_write_b32 v134, v0 offset:5280
	s_waitcnt lgkmcnt(0)
	; wave barrier
	s_waitcnt lgkmcnt(0)
	ds_read2_b32 v[0:1], v91 offset1:55
	ds_read2_b32 v[2:3], v64 offset0:92 offset1:147
	ds_read2_b32 v[4:5], v61 offset0:38 offset1:93
	ds_read2_b32 v[6:7], v60 offset0:2 offset1:57
	ds_read2_b32 v[8:9], v59 offset0:76 offset1:131
	ds_read2_b32 v[10:11], v62 offset0:74 offset1:129
	ds_read2_b32 v[12:13], v60 offset0:112 offset1:167
	s_waitcnt lgkmcnt(5)
	v_lshrrev_b32_e32 v25, 16, v3
	v_mul_f16_sdwa v79, v36, v25 dst_sel:DWORD dst_unused:UNUSED_PAD src0_sel:WORD_1 src1_sel:DWORD
	s_waitcnt lgkmcnt(4)
	v_lshrrev_b32_e32 v26, 16, v4
	v_fma_f16 v79, v36, v3, v79
	v_mul_f16_sdwa v3, v36, v3 dst_sel:DWORD dst_unused:UNUSED_PAD src0_sel:WORD_1 src1_sel:DWORD
	v_fma_f16 v3, v36, v25, -v3
	v_mul_f16_sdwa v25, v37, v26 dst_sel:DWORD dst_unused:UNUSED_PAD src0_sel:WORD_1 src1_sel:DWORD
	s_waitcnt lgkmcnt(3)
	v_lshrrev_b32_e32 v27, 16, v7
	v_fma_f16 v25, v37, v4, v25
	v_mul_f16_sdwa v4, v37, v4 dst_sel:DWORD dst_unused:UNUSED_PAD src0_sel:WORD_1 src1_sel:DWORD
	v_fma_f16 v4, v37, v26, -v4
	v_mul_f16_sdwa v26, v38, v27 dst_sel:DWORD dst_unused:UNUSED_PAD src0_sel:WORD_1 src1_sel:DWORD
	s_waitcnt lgkmcnt(2)
	v_lshrrev_b32_e32 v28, 16, v8
	v_fma_f16 v26, v38, v7, v26
	v_mul_f16_sdwa v7, v38, v7 dst_sel:DWORD dst_unused:UNUSED_PAD src0_sel:WORD_1 src1_sel:DWORD
	v_fma_f16 v7, v38, v27, -v7
	v_mul_f16_sdwa v27, v39, v28 dst_sel:DWORD dst_unused:UNUSED_PAD src0_sel:WORD_1 src1_sel:DWORD
	s_waitcnt lgkmcnt(1)
	v_lshrrev_b32_e32 v30, 16, v10
	v_fma_f16 v27, v39, v8, v27
	v_mul_f16_sdwa v8, v39, v8 dst_sel:DWORD dst_unused:UNUSED_PAD src0_sel:WORD_1 src1_sel:DWORD
	ds_read2_b32 v[20:21], v62 offset0:184 offset1:239
	v_fma_f16 v8, v39, v28, -v8
	v_mul_f16_sdwa v28, v40, v30 dst_sel:DWORD dst_unused:UNUSED_PAD src0_sel:WORD_1 src1_sel:DWORD
	v_lshrrev_b32_e32 v31, 16, v5
	ds_read2_b32 v[16:17], v61 offset0:148 offset1:203
	v_fma_f16 v28, v40, v10, v28
	v_mul_f16_sdwa v10, v40, v10 dst_sel:DWORD dst_unused:UNUSED_PAD src0_sel:WORD_1 src1_sel:DWORD
	ds_read2_b32 v[18:19], v59 offset0:186 offset1:241
	ds_read2_b32 v[22:23], v63 offset0:94 offset1:149
	v_fma_f16 v10, v40, v30, -v10
	v_mul_f16_sdwa v30, v41, v31 dst_sel:DWORD dst_unused:UNUSED_PAD src0_sel:WORD_1 src1_sel:DWORD
	s_waitcnt lgkmcnt(4)
	v_lshrrev_b32_e32 v32, 16, v12
	v_fma_f16 v30, v41, v5, v30
	v_mul_f16_sdwa v5, v41, v5 dst_sel:DWORD dst_unused:UNUSED_PAD src0_sel:WORD_1 src1_sel:DWORD
	v_fma_f16 v5, v41, v31, -v5
	v_mul_f16_sdwa v31, v42, v32 dst_sel:DWORD dst_unused:UNUSED_PAD src0_sel:WORD_1 src1_sel:DWORD
	v_lshrrev_b32_e32 v33, 16, v9
	s_waitcnt lgkmcnt(3)
	v_lshrrev_b32_e32 v69, 16, v20
	v_fma_f16 v31, v42, v12, v31
	v_mul_f16_sdwa v12, v42, v12 dst_sel:DWORD dst_unused:UNUSED_PAD src0_sel:WORD_1 src1_sel:DWORD
	s_waitcnt lgkmcnt(2)
	v_lshrrev_b32_e32 v70, 16, v17
	v_fma_f16 v12, v42, v32, -v12
	v_mul_f16_sdwa v32, v43, v33 dst_sel:DWORD dst_unused:UNUSED_PAD src0_sel:WORD_1 src1_sel:DWORD
	v_mul_f16_sdwa v38, v48, v69 dst_sel:DWORD dst_unused:UNUSED_PAD src0_sel:WORD_1 src1_sel:DWORD
	s_waitcnt lgkmcnt(0)
	v_lshrrev_b32_e32 v71, 16, v22
	v_lshrrev_b32_e32 v72, 16, v19
	v_lshrrev_b32_e32 v75, 16, v21
	v_lshrrev_b32_e32 v76, 16, v6
	v_fma_f16 v32, v43, v9, v32
	v_mul_f16_sdwa v9, v43, v9 dst_sel:DWORD dst_unused:UNUSED_PAD src0_sel:WORD_1 src1_sel:DWORD
	v_fma_f16 v38, v48, v20, v38
	v_mul_f16_sdwa v20, v48, v20 dst_sel:DWORD dst_unused:UNUSED_PAD src0_sel:WORD_1 src1_sel:DWORD
	v_mul_f16_sdwa v39, v49, v70 dst_sel:DWORD dst_unused:UNUSED_PAD src0_sel:WORD_1 src1_sel:DWORD
	v_fma_f16 v9, v43, v33, -v9
	v_fma_f16 v20, v48, v69, -v20
	v_fma_f16 v39, v49, v17, v39
	v_mul_f16_sdwa v17, v49, v17 dst_sel:DWORD dst_unused:UNUSED_PAD src0_sel:WORD_1 src1_sel:DWORD
	v_mul_f16_sdwa v40, v50, v71 dst_sel:DWORD dst_unused:UNUSED_PAD src0_sel:WORD_1 src1_sel:DWORD
	v_mul_f16_sdwa v41, v51, v72 dst_sel:DWORD dst_unused:UNUSED_PAD src0_sel:WORD_1 src1_sel:DWORD
	v_mul_f16_sdwa v42, v52, v75 dst_sel:DWORD dst_unused:UNUSED_PAD src0_sel:WORD_1 src1_sel:DWORD
	v_mul_f16_sdwa v43, v53, v76 dst_sel:DWORD dst_unused:UNUSED_PAD src0_sel:WORD_1 src1_sel:DWORD
	v_add_f16_e32 v48, v25, v26
	v_lshrrev_b32_e32 v35, 16, v11
	v_lshrrev_b32_e32 v67, 16, v18
	v_fma_f16 v17, v49, v70, -v17
	v_fma_f16 v40, v50, v22, v40
	v_mul_f16_sdwa v22, v50, v22 dst_sel:DWORD dst_unused:UNUSED_PAD src0_sel:WORD_1 src1_sel:DWORD
	v_fma_f16 v41, v51, v19, v41
	v_mul_f16_sdwa v19, v51, v19 dst_sel:DWORD dst_unused:UNUSED_PAD src0_sel:WORD_1 src1_sel:DWORD
	;; [unrolled: 2-line block ×4, first 2 shown]
	v_fma_f16 v48, v48, -0.5, v0
	v_sub_f16_e32 v49, v3, v8
	v_mul_f16_sdwa v33, v44, v35 dst_sel:DWORD dst_unused:UNUSED_PAD src0_sel:WORD_1 src1_sel:DWORD
	v_mul_f16_sdwa v37, v47, v67 dst_sel:DWORD dst_unused:UNUSED_PAD src0_sel:WORD_1 src1_sel:DWORD
	v_fma_f16 v22, v50, v71, -v22
	v_fma_f16 v19, v51, v72, -v19
	v_fma_f16 v21, v52, v75, -v21
	v_fma_f16 v6, v53, v76, -v6
	v_fma_f16 v50, v49, s1, v48
	v_sub_f16_e32 v51, v4, v7
	v_sub_f16_e32 v52, v79, v25
	;; [unrolled: 1-line block ×3, first 2 shown]
	v_fma_f16 v48, v49, s3, v48
	v_lshrrev_b32_e32 v77, 16, v23
	v_fma_f16 v33, v44, v11, v33
	v_mul_f16_sdwa v11, v44, v11 dst_sel:DWORD dst_unused:UNUSED_PAD src0_sel:WORD_1 src1_sel:DWORD
	v_fma_f16 v37, v47, v18, v37
	v_mul_f16_sdwa v18, v47, v18 dst_sel:DWORD dst_unused:UNUSED_PAD src0_sel:WORD_1 src1_sel:DWORD
	v_fma_f16 v50, v51, s0, v50
	v_add_f16_e32 v52, v52, v53
	v_fma_f16 v48, v51, s4, v48
	v_fma_f16 v11, v44, v35, -v11
	v_fma_f16 v18, v47, v67, -v18
	v_mul_f16_sdwa v44, v54, v77 dst_sel:DWORD dst_unused:UNUSED_PAD src0_sel:WORD_1 src1_sel:DWORD
	v_add_f16_e32 v47, v0, v79
	v_fma_f16 v50, v52, s2, v50
	v_fma_f16 v48, v52, s2, v48
	v_add_f16_e32 v52, v79, v27
	v_lshrrev_b32_e32 v24, 16, v0
	v_fma_f16 v44, v54, v23, v44
	v_mul_f16_sdwa v23, v54, v23 dst_sel:DWORD dst_unused:UNUSED_PAD src0_sel:WORD_1 src1_sel:DWORD
	v_add_f16_e32 v47, v47, v25
	v_fma_f16 v0, v52, -0.5, v0
	v_fma_f16 v23, v54, v77, -v23
	v_add_f16_e32 v47, v47, v26
	v_fma_f16 v52, v51, s3, v0
	v_sub_f16_e32 v53, v25, v79
	v_sub_f16_e32 v54, v26, v27
	v_fma_f16 v0, v51, s1, v0
	v_add_f16_e32 v51, v4, v7
	v_add_f16_e32 v47, v47, v27
	v_fma_f16 v52, v49, s0, v52
	v_add_f16_e32 v53, v53, v54
	v_fma_f16 v0, v49, s4, v0
	v_fma_f16 v51, v51, -0.5, v24
	v_sub_f16_e32 v27, v79, v27
	v_fma_f16 v52, v53, s2, v52
	v_fma_f16 v0, v53, s2, v0
	;; [unrolled: 1-line block ×3, first 2 shown]
	v_sub_f16_e32 v25, v25, v26
	v_fma_f16 v26, v25, s4, v53
	v_sub_f16_e32 v53, v3, v4
	v_sub_f16_e32 v54, v8, v7
	v_fma_f16 v51, v27, s1, v51
	v_add_f16_e32 v49, v24, v3
	v_add_f16_e32 v53, v53, v54
	v_fma_f16 v51, v25, s0, v51
	v_add_f16_e32 v49, v49, v4
	v_fma_f16 v26, v53, s2, v26
	v_fma_f16 v51, v53, s2, v51
	v_add_f16_e32 v53, v3, v8
	v_add_f16_e32 v49, v49, v7
	v_fma_f16 v24, v53, -0.5, v24
	ds_read_b32 v73, v91 offset:5280
	v_add_f16_e32 v49, v49, v8
	v_fma_f16 v53, v25, s1, v24
	v_sub_f16_e32 v3, v4, v3
	v_sub_f16_e32 v4, v7, v8
	v_add_f16_e32 v8, v30, v31
	v_fma_f16 v53, v27, s4, v53
	v_add_f16_e32 v3, v3, v4
	v_fma_f16 v7, v25, s3, v24
	v_fma_f16 v8, v8, -0.5, v1
	v_sub_f16_e32 v24, v10, v9
	v_fma_f16 v4, v3, s2, v53
	v_fma_f16 v7, v27, s0, v7
	v_fma_f16 v25, v24, s1, v8
	v_sub_f16_e32 v27, v5, v12
	v_sub_f16_e32 v53, v28, v30
	;; [unrolled: 1-line block ×3, first 2 shown]
	v_fma_f16 v8, v24, s3, v8
	v_lshrrev_b32_e32 v65, 16, v16
	v_lshrrev_b32_e32 v66, 16, v13
	v_fma_f16 v25, v27, s0, v25
	v_add_f16_e32 v53, v53, v54
	v_fma_f16 v8, v27, s4, v8
	v_mul_f16_sdwa v35, v45, v65 dst_sel:DWORD dst_unused:UNUSED_PAD src0_sel:WORD_1 src1_sel:DWORD
	v_mul_f16_sdwa v36, v46, v66 dst_sel:DWORD dst_unused:UNUSED_PAD src0_sel:WORD_1 src1_sel:DWORD
	v_fma_f16 v25, v53, s2, v25
	v_fma_f16 v8, v53, s2, v8
	v_add_f16_e32 v53, v28, v32
	v_lshrrev_b32_e32 v29, 16, v1
	s_waitcnt lgkmcnt(0)
	v_lshrrev_b32_e32 v78, 16, v73
	v_fma_f16 v35, v45, v16, v35
	v_mul_f16_sdwa v16, v45, v16 dst_sel:DWORD dst_unused:UNUSED_PAD src0_sel:WORD_1 src1_sel:DWORD
	v_fma_f16 v36, v46, v13, v36
	v_mul_f16_sdwa v13, v46, v13 dst_sel:DWORD dst_unused:UNUSED_PAD src0_sel:WORD_1 src1_sel:DWORD
	v_fma_f16 v3, v3, s2, v7
	v_add_f16_e32 v7, v1, v28
	v_fma_f16 v1, v53, -0.5, v1
	v_fma_f16 v16, v45, v65, -v16
	v_fma_f16 v13, v46, v66, -v13
	v_mul_f16_sdwa v45, v55, v78 dst_sel:DWORD dst_unused:UNUSED_PAD src0_sel:WORD_1 src1_sel:DWORD
	v_mul_f16_sdwa v46, v55, v73 dst_sel:DWORD dst_unused:UNUSED_PAD src0_sel:WORD_1 src1_sel:DWORD
	v_add_f16_e32 v7, v7, v30
	v_fma_f16 v53, v27, s3, v1
	v_fma_f16 v1, v27, s1, v1
	v_add_f16_e32 v27, v5, v12
	v_fma_f16 v45, v55, v73, v45
	v_fma_f16 v46, v55, v78, -v46
	v_add_f16_e32 v7, v7, v31
	v_sub_f16_e32 v54, v30, v28
	v_sub_f16_e32 v55, v31, v32
	v_fma_f16 v27, v27, -0.5, v29
	v_sub_f16_e32 v28, v28, v32
	v_add_f16_e32 v7, v7, v32
	v_fma_f16 v53, v24, s0, v53
	v_add_f16_e32 v54, v54, v55
	v_fma_f16 v1, v24, s4, v1
	v_fma_f16 v32, v28, s3, v27
	v_sub_f16_e32 v30, v30, v31
	ds_read2_b32 v[14:15], v91 offset0:110 offset1:165
	v_fma_f16 v53, v54, s2, v53
	v_fma_f16 v1, v54, s2, v1
	;; [unrolled: 1-line block ×3, first 2 shown]
	v_sub_f16_e32 v32, v10, v5
	v_sub_f16_e32 v54, v9, v12
	v_fma_f16 v27, v28, s1, v27
	v_add_f16_e32 v24, v29, v10
	v_add_f16_e32 v32, v32, v54
	v_fma_f16 v27, v30, s0, v27
	v_add_f16_e32 v24, v24, v5
	v_fma_f16 v31, v32, s2, v31
	v_fma_f16 v27, v32, s2, v27
	v_add_f16_e32 v32, v10, v9
	v_add_f16_e32 v24, v24, v12
	v_fma_f16 v29, v32, -0.5, v29
	v_add_f16_e32 v24, v24, v9
	v_fma_f16 v32, v30, s1, v29
	v_sub_f16_e32 v5, v5, v10
	v_sub_f16_e32 v9, v12, v9
	v_fma_f16 v10, v30, s3, v29
	v_add_f16_e32 v12, v35, v36
	v_fma_f16 v32, v28, s4, v32
	v_add_f16_e32 v5, v5, v9
	v_fma_f16 v10, v28, s0, v10
	s_waitcnt lgkmcnt(0)
	v_fma_f16 v12, v12, -0.5, v14
	v_sub_f16_e32 v28, v11, v18
	v_fma_f16 v9, v5, s2, v32
	v_fma_f16 v29, v28, s1, v12
	v_sub_f16_e32 v30, v16, v13
	v_sub_f16_e32 v32, v33, v35
	v_sub_f16_e32 v54, v37, v36
	v_fma_f16 v12, v28, s3, v12
	v_fma_f16 v29, v30, s0, v29
	v_add_f16_e32 v32, v32, v54
	v_fma_f16 v12, v30, s4, v12
	v_fma_f16 v29, v32, s2, v29
	;; [unrolled: 1-line block ×3, first 2 shown]
	v_add_f16_e32 v32, v33, v37
	v_lshrrev_b32_e32 v34, 16, v14
	v_fma_f16 v5, v5, s2, v10
	v_add_f16_e32 v10, v14, v33
	v_fma_f16 v14, v32, -0.5, v14
	v_add_f16_e32 v10, v10, v35
	v_fma_f16 v32, v30, s3, v14
	v_fma_f16 v14, v30, s1, v14
	v_add_f16_e32 v30, v16, v13
	v_add_f16_e32 v10, v10, v36
	v_sub_f16_e32 v54, v35, v33
	v_sub_f16_e32 v55, v36, v37
	v_fma_f16 v30, v30, -0.5, v34
	v_sub_f16_e32 v33, v33, v37
	v_add_f16_e32 v10, v10, v37
	v_fma_f16 v32, v28, s0, v32
	v_add_f16_e32 v54, v54, v55
	v_fma_f16 v14, v28, s4, v14
	v_fma_f16 v37, v33, s3, v30
	v_sub_f16_e32 v35, v35, v36
	v_fma_f16 v32, v54, s2, v32
	v_fma_f16 v14, v54, s2, v14
	;; [unrolled: 1-line block ×3, first 2 shown]
	v_sub_f16_e32 v37, v11, v16
	v_sub_f16_e32 v54, v18, v13
	v_fma_f16 v30, v33, s1, v30
	v_add_f16_e32 v28, v34, v11
	v_add_f16_e32 v37, v37, v54
	v_fma_f16 v30, v35, s0, v30
	v_add_f16_e32 v28, v28, v16
	v_fma_f16 v36, v37, s2, v36
	v_fma_f16 v30, v37, s2, v30
	v_add_f16_e32 v37, v11, v18
	v_add_f16_e32 v28, v28, v13
	v_fma_f16 v34, v37, -0.5, v34
	v_add_f16_e32 v28, v28, v18
	v_fma_f16 v37, v35, s1, v34
	v_sub_f16_e32 v11, v16, v11
	v_sub_f16_e32 v13, v13, v18
	v_fma_f16 v16, v35, s3, v34
	v_add_f16_e32 v18, v39, v40
	v_fma_f16 v37, v33, s4, v37
	v_add_f16_e32 v11, v11, v13
	v_fma_f16 v16, v33, s0, v16
	v_fma_f16 v18, v18, -0.5, v15
	v_sub_f16_e32 v33, v20, v19
	v_fma_f16 v13, v11, s2, v37
	v_fma_f16 v34, v33, s1, v18
	v_sub_f16_e32 v35, v17, v22
	v_sub_f16_e32 v37, v38, v39
	;; [unrolled: 1-line block ×3, first 2 shown]
	v_fma_f16 v18, v33, s3, v18
	v_fma_f16 v34, v35, s0, v34
	v_add_f16_e32 v37, v37, v54
	v_fma_f16 v18, v35, s4, v18
	v_fma_f16 v34, v37, s2, v34
	;; [unrolled: 1-line block ×3, first 2 shown]
	v_add_f16_e32 v37, v38, v41
	v_lshrrev_b32_e32 v68, 16, v15
	v_fma_f16 v11, v11, s2, v16
	v_add_f16_e32 v16, v15, v38
	v_fma_f16 v15, v37, -0.5, v15
	v_add_f16_e32 v16, v16, v39
	v_fma_f16 v37, v35, s3, v15
	v_fma_f16 v15, v35, s1, v15
	v_add_f16_e32 v35, v17, v22
	v_add_f16_e32 v16, v16, v40
	v_sub_f16_e32 v54, v39, v38
	v_sub_f16_e32 v55, v40, v41
	v_fma_f16 v35, v35, -0.5, v68
	v_sub_f16_e32 v38, v38, v41
	v_add_f16_e32 v16, v16, v41
	v_fma_f16 v37, v33, s0, v37
	v_add_f16_e32 v54, v54, v55
	v_fma_f16 v15, v33, s4, v15
	v_fma_f16 v41, v38, s3, v35
	v_sub_f16_e32 v39, v39, v40
	v_fma_f16 v37, v54, s2, v37
	v_fma_f16 v15, v54, s2, v15
	;; [unrolled: 1-line block ×3, first 2 shown]
	v_sub_f16_e32 v41, v20, v17
	v_sub_f16_e32 v54, v19, v22
	v_fma_f16 v35, v38, s1, v35
	v_add_f16_e32 v33, v68, v20
	v_add_f16_e32 v41, v41, v54
	v_fma_f16 v35, v39, s0, v35
	v_add_f16_e32 v33, v33, v17
	v_fma_f16 v40, v41, s2, v40
	v_fma_f16 v35, v41, s2, v35
	v_add_f16_e32 v41, v20, v19
	v_add_f16_e32 v33, v33, v22
	v_fma_f16 v41, v41, -0.5, v68
	v_add_f16_e32 v33, v33, v19
	v_fma_f16 v54, v39, s1, v41
	v_sub_f16_e32 v17, v17, v20
	v_sub_f16_e32 v19, v22, v19
	v_fma_f16 v20, v39, s3, v41
	v_add_f16_e32 v22, v43, v44
	v_fma_f16 v54, v38, s4, v54
	v_add_f16_e32 v17, v17, v19
	v_fma_f16 v20, v38, s0, v20
	v_fma_f16 v22, v22, -0.5, v2
	v_sub_f16_e32 v38, v21, v46
	v_fma_f16 v19, v17, s2, v54
	v_fma_f16 v39, v38, s1, v22
	v_sub_f16_e32 v41, v6, v23
	v_sub_f16_e32 v54, v42, v43
	;; [unrolled: 1-line block ×3, first 2 shown]
	v_fma_f16 v22, v38, s3, v22
	v_fma_f16 v39, v41, s0, v39
	v_add_f16_e32 v54, v54, v55
	v_fma_f16 v22, v41, s4, v22
	v_fma_f16 v39, v54, s2, v39
	;; [unrolled: 1-line block ×3, first 2 shown]
	v_add_f16_e32 v54, v42, v45
	v_lshrrev_b32_e32 v74, 16, v2
	v_fma_f16 v17, v17, s2, v20
	v_add_f16_e32 v20, v2, v42
	v_fma_f16 v2, v54, -0.5, v2
	v_add_f16_e32 v20, v20, v43
	v_fma_f16 v54, v41, s3, v2
	v_fma_f16 v2, v41, s1, v2
	v_add_f16_e32 v41, v6, v23
	v_add_f16_e32 v20, v20, v44
	v_sub_f16_e32 v55, v43, v42
	v_sub_f16_e32 v65, v44, v45
	v_fma_f16 v41, v41, -0.5, v74
	v_sub_f16_e32 v42, v42, v45
	v_add_f16_e32 v20, v20, v45
	v_fma_f16 v54, v38, s0, v54
	v_add_f16_e32 v55, v55, v65
	v_fma_f16 v2, v38, s4, v2
	v_fma_f16 v45, v42, s3, v41
	v_sub_f16_e32 v43, v43, v44
	v_fma_f16 v54, v55, s2, v54
	v_fma_f16 v2, v55, s2, v2
	;; [unrolled: 1-line block ×3, first 2 shown]
	v_sub_f16_e32 v45, v21, v6
	v_sub_f16_e32 v55, v46, v23
	v_fma_f16 v41, v42, s1, v41
	v_add_f16_e32 v45, v45, v55
	v_fma_f16 v41, v43, s0, v41
	v_add_f16_e32 v38, v74, v21
	v_fma_f16 v44, v45, s2, v44
	v_fma_f16 v41, v45, s2, v41
	v_add_f16_e32 v45, v21, v46
	v_add_f16_e32 v38, v38, v6
	v_fma_f16 v45, v45, -0.5, v74
	v_add_f16_e32 v38, v38, v23
	v_fma_f16 v55, v43, s1, v45
	v_sub_f16_e32 v6, v6, v21
	v_sub_f16_e32 v21, v23, v46
	v_fma_f16 v23, v43, s3, v45
	v_pack_b32_f16 v0, v0, v3
	v_fma_f16 v55, v42, s4, v55
	v_add_f16_e32 v6, v6, v21
	v_fma_f16 v23, v42, s0, v23
	ds_write_b32 v91, v0 offset:3300
	v_pack_b32_f16 v0, v48, v51
	v_fma_f16 v21, v6, s2, v55
	v_fma_f16 v6, v6, s2, v23
	v_pack_b32_f16 v23, v47, v49
	v_pack_b32_f16 v26, v50, v26
	;; [unrolled: 1-line block ×3, first 2 shown]
	ds_write_b32 v91, v0 offset:4400
	v_pack_b32_f16 v0, v7, v24
	ds_write_b32 v91, v26 offset:1100
	ds_write_b32 v91, v4 offset:2200
	ds_write2_b32 v91, v23, v0 offset1:55
	v_pack_b32_f16 v0, v25, v31
	v_pack_b32_f16 v7, v29, v36
	;; [unrolled: 1-line block ×3, first 2 shown]
	ds_write2_b32 v62, v0, v7 offset0:74 offset1:129
	v_pack_b32_f16 v0, v32, v13
	v_pack_b32_f16 v1, v1, v5
	ds_write2_b32 v61, v3, v0 offset0:93 offset1:148
	v_pack_b32_f16 v0, v14, v11
	v_pack_b32_f16 v4, v8, v27
	ds_write2_b32 v60, v1, v0 offset0:112 offset1:167
	v_pack_b32_f16 v0, v12, v30
	v_add_f16_e32 v38, v38, v46
	v_pack_b32_f16 v5, v10, v28
	ds_write2_b32 v59, v4, v0 offset0:131 offset1:186
	v_pack_b32_f16 v0, v16, v33
	ds_write2_b32 v91, v5, v0 offset0:110 offset1:165
	v_pack_b32_f16 v5, v20, v38
	v_pack_b32_f16 v0, v34, v40
	ds_write_b32 v91, v5 offset:880
	v_pack_b32_f16 v5, v39, v44
	v_pack_b32_f16 v1, v37, v19
	ds_write2_b32 v62, v0, v5 offset0:184 offset1:239
	v_pack_b32_f16 v0, v54, v21
	v_add_u32_e32 v12, 0xa00, v91
	v_pack_b32_f16 v3, v15, v17
	ds_write2_b32 v12, v1, v0 offset0:75 offset1:130
	v_pack_b32_f16 v0, v2, v6
	v_pack_b32_f16 v4, v18, v35
	ds_write2_b32 v63, v3, v0 offset0:94 offset1:149
	v_pack_b32_f16 v0, v22, v41
	v_add_u32_e32 v20, 0x1200, v91
	ds_write2_b32 v20, v4, v0 offset0:113 offset1:168
	s_waitcnt lgkmcnt(0)
	; wave barrier
	s_waitcnt lgkmcnt(0)
	ds_read2_b32 v[0:1], v91 offset1:55
	s_mov_b32 s12, 0x4a19b16e
	s_mov_b32 s13, 0x3f47d4ce
	v_mad_u64_u32 v[4:5], s[0:1], s10, v58, 0
	s_waitcnt lgkmcnt(0)
	v_lshrrev_b32_e32 v7, 16, v0
	v_mul_f16_sdwa v2, v114, v7 dst_sel:DWORD dst_unused:UNUSED_PAD src0_sel:WORD_1 src1_sel:DWORD
	v_fma_f16 v2, v114, v0, v2
	v_cvt_f32_f16_e32 v2, v2
	s_movk_i32 s19, 0x1ff
	v_mad_u64_u32 v[5:6], s[0:1], s11, v58, v[5:6]
	v_cvt_f64_f32_e32 v[2:3], v2
	s_movk_i32 s16, 0xffe
	v_mul_f16_sdwa v0, v114, v0 dst_sel:DWORD dst_unused:UNUSED_PAD src0_sel:WORD_1 src1_sel:DWORD
	v_fma_f16 v0, v114, v7, -v0
	v_mul_f64 v[2:3], v[2:3], s[12:13]
	v_cvt_f32_f16_e32 v0, v0
	v_mov_b32_e32 v22, 0x7c00
	s_movk_i32 s17, 0x40f
	s_mov_b32 s18, 0x8000
	v_lshlrev_b64 v[4:5], 2, v[4:5]
	ds_read2_b32 v[20:21], v20 offset0:98 offset1:153
	s_movk_i32 s20, 0x1000
	v_and_or_b32 v2, v3, s19, v2
	v_cmp_ne_u32_e64 s[0:1], 0, v2
	v_cndmask_b32_e64 v2, 0, 1, s[0:1]
	v_lshrrev_b32_e32 v6, 8, v3
	v_bfe_u32 v8, v3, 20, 11
	v_and_or_b32 v2, v6, s16, v2
	v_sub_u32_e32 v9, 0x3f1, v8
	v_or_b32_e32 v6, 0x1000, v2
	v_med3_i32 v9, v9, 0, 13
	v_lshrrev_b32_e32 v10, v9, v6
	v_lshlrev_b32_e32 v9, v9, v10
	v_cmp_ne_u32_e64 s[0:1], v9, v6
	v_cndmask_b32_e64 v6, 0, 1, s[0:1]
	v_add_u32_e32 v8, 0xfffffc10, v8
	v_or_b32_e32 v6, v10, v6
	v_lshl_or_b32 v9, v8, 12, v2
	v_cmp_gt_i32_e64 s[0:1], 1, v8
	v_cndmask_b32_e64 v6, v9, v6, s[0:1]
	v_and_b32_e32 v9, 7, v6
	v_cmp_lt_i32_e64 s[0:1], 5, v9
	v_cmp_eq_u32_e64 s[2:3], 3, v9
	v_lshrrev_b32_e32 v6, 2, v6
	s_or_b64 s[0:1], s[2:3], s[0:1]
	v_addc_co_u32_e64 v9, s[0:1], 0, v6, s[0:1]
	v_cvt_f64_f32_e32 v[6:7], v0
	v_cmp_gt_i32_e64 s[0:1], 31, v8
	v_cndmask_b32_e64 v0, v22, v9, s[0:1]
	v_cmp_ne_u32_e64 s[0:1], 0, v2
	v_mul_f64 v[6:7], v[6:7], s[12:13]
	v_cndmask_b32_e64 v2, 0, 1, s[0:1]
	v_lshl_or_b32 v2, v2, 9, v22
	v_cmp_eq_u32_e64 s[0:1], s17, v8
	v_cndmask_b32_e64 v0, v0, v2, s[0:1]
	v_lshrrev_b32_e32 v2, 16, v3
	v_and_or_b32 v10, v2, s18, v0
	v_and_b32_e32 v10, 0xffff, v10
	v_and_or_b32 v0, v7, s19, v6
	v_cmp_ne_u32_e64 s[0:1], 0, v0
	v_cndmask_b32_e64 v0, 0, 1, s[0:1]
	v_lshrrev_b32_e32 v2, 8, v7
	v_bfe_u32 v3, v7, 20, 11
	v_and_or_b32 v0, v2, s16, v0
	v_sub_u32_e32 v6, 0x3f1, v3
	v_or_b32_e32 v2, 0x1000, v0
	v_med3_i32 v6, v6, 0, 13
	v_lshrrev_b32_e32 v8, v6, v2
	v_lshlrev_b32_e32 v6, v6, v8
	v_cmp_ne_u32_e64 s[0:1], v6, v2
	v_cndmask_b32_e64 v2, 0, 1, s[0:1]
	v_add_u32_e32 v3, 0xfffffc10, v3
	v_or_b32_e32 v2, v8, v2
	v_lshl_or_b32 v6, v3, 12, v0
	v_cmp_gt_i32_e64 s[0:1], 1, v3
	v_cndmask_b32_e64 v2, v6, v2, s[0:1]
	v_and_b32_e32 v6, 7, v2
	v_cmp_lt_i32_e64 s[0:1], 5, v6
	v_cmp_eq_u32_e64 s[2:3], 3, v6
	v_lshrrev_b32_e32 v2, 2, v2
	s_or_b64 s[0:1], s[2:3], s[0:1]
	v_addc_co_u32_e64 v2, s[0:1], 0, v2, s[0:1]
	v_cmp_gt_i32_e64 s[0:1], 31, v3
	v_cndmask_b32_e64 v2, v22, v2, s[0:1]
	v_cmp_ne_u32_e64 s[0:1], 0, v0
	v_cndmask_b32_e64 v0, 0, 1, s[0:1]
	v_mad_u64_u32 v[8:9], s[0:1], s8, v92, 0
	v_lshl_or_b32 v0, v0, 9, v22
	v_cmp_eq_u32_e64 s[0:1], s17, v3
	v_cndmask_b32_e64 v11, v2, v0, s[0:1]
	ds_read2_b32 v[2:3], v91 offset0:125 offset1:180
	v_mov_b32_e32 v0, v9
	v_lshrrev_b32_e32 v13, 16, v7
	v_mad_u64_u32 v[6:7], s[0:1], s9, v92, v[0:1]
	s_waitcnt lgkmcnt(0)
	v_lshrrev_b32_e32 v0, 16, v2
	v_mul_f16_sdwa v7, v113, v0 dst_sel:DWORD dst_unused:UNUSED_PAD src0_sel:WORD_1 src1_sel:DWORD
	v_fma_f16 v7, v113, v2, v7
	v_cvt_f32_f16_e32 v7, v7
	v_mov_b32_e32 v9, v6
	v_and_or_b32 v11, v13, s18, v11
	v_lshl_or_b32 v10, v11, 16, v10
	v_cvt_f64_f32_e32 v[6:7], v7
	v_mov_b32_e32 v11, s15
	v_add_co_u32_e64 v23, s[0:1], s14, v4
	v_mul_f64 v[6:7], v[6:7], s[12:13]
	v_addc_co_u32_e64 v24, s[0:1], v11, v5, s[0:1]
	v_lshlrev_b64 v[4:5], 2, v[8:9]
	v_mul_f16_sdwa v2, v113, v2 dst_sel:DWORD dst_unused:UNUSED_PAD src0_sel:WORD_1 src1_sel:DWORD
	v_add_co_u32_e64 v8, s[0:1], v23, v4
	v_addc_co_u32_e64 v9, s[0:1], v24, v5, s[0:1]
	v_and_or_b32 v4, v7, s19, v6
	v_cmp_ne_u32_e64 s[0:1], 0, v4
	v_cndmask_b32_e64 v4, 0, 1, s[0:1]
	v_lshrrev_b32_e32 v5, 8, v7
	global_store_dword v[8:9], v10, off
	v_and_or_b32 v10, v5, s16, v4
	v_bfe_u32 v5, v7, 20, 11
	v_sub_u32_e32 v6, 0x3f1, v5
	v_or_b32_e32 v4, 0x1000, v10
	v_med3_i32 v6, v6, 0, 13
	v_lshrrev_b32_e32 v11, v6, v4
	v_lshlrev_b32_e32 v6, v6, v11
	v_cmp_ne_u32_e64 s[0:1], v6, v4
	v_cndmask_b32_e64 v4, 0, 1, s[0:1]
	v_fma_f16 v0, v113, v0, -v2
	v_or_b32_e32 v4, v11, v4
	v_add_u32_e32 v11, 0xfffffc10, v5
	v_cvt_f32_f16_e32 v0, v0
	v_lshl_or_b32 v5, v11, 12, v10
	v_cmp_gt_i32_e64 s[0:1], 1, v11
	v_cndmask_b32_e64 v4, v5, v4, s[0:1]
	v_and_b32_e32 v5, 7, v4
	v_cmp_lt_i32_e64 s[0:1], 5, v5
	v_cmp_eq_u32_e64 s[2:3], 3, v5
	v_lshrrev_b32_e32 v2, 2, v4
	v_cvt_f64_f32_e32 v[4:5], v0
	s_or_b64 s[0:1], s[2:3], s[0:1]
	v_addc_co_u32_e64 v0, s[0:1], 0, v2, s[0:1]
	v_mul_f64 v[5:6], v[4:5], s[12:13]
	v_cmp_gt_i32_e64 s[0:1], 31, v11
	v_cndmask_b32_e64 v0, v22, v0, s[0:1]
	v_cmp_ne_u32_e64 s[0:1], 0, v10
	v_cndmask_b32_e64 v2, 0, 1, s[0:1]
	v_lshl_or_b32 v2, v2, 9, v22
	v_cmp_eq_u32_e64 s[0:1], s17, v11
	v_cndmask_b32_e64 v0, v0, v2, s[0:1]
	v_lshrrev_b32_e32 v2, 16, v7
	v_and_or_b32 v0, v2, s18, v0
	v_and_or_b32 v2, v6, s19, v5
	v_cmp_ne_u32_e64 s[0:1], 0, v2
	v_cndmask_b32_e64 v2, 0, 1, s[0:1]
	v_lshrrev_b32_e32 v4, 8, v6
	v_bfe_u32 v5, v6, 20, 11
	v_and_or_b32 v2, v4, s16, v2
	v_sub_u32_e32 v7, 0x3f1, v5
	v_or_b32_e32 v4, 0x1000, v2
	v_med3_i32 v7, v7, 0, 13
	v_lshrrev_b32_e32 v10, v7, v4
	v_lshlrev_b32_e32 v7, v7, v10
	v_cmp_ne_u32_e64 s[0:1], v7, v4
	v_cndmask_b32_e64 v4, 0, 1, s[0:1]
	v_add_u32_e32 v7, 0xfffffc10, v5
	v_or_b32_e32 v4, v10, v4
	v_lshl_or_b32 v5, v7, 12, v2
	v_cmp_gt_i32_e64 s[0:1], 1, v7
	v_cndmask_b32_e64 v4, v5, v4, s[0:1]
	v_and_b32_e32 v5, 7, v4
	v_cmp_lt_i32_e64 s[0:1], 5, v5
	v_cmp_eq_u32_e64 s[2:3], 3, v5
	v_lshrrev_b32_e32 v4, 2, v4
	s_or_b64 s[0:1], s[2:3], s[0:1]
	v_addc_co_u32_e64 v4, s[0:1], 0, v4, s[0:1]
	v_cmp_gt_i32_e64 s[0:1], 31, v7
	v_cndmask_b32_e64 v10, v22, v4, s[0:1]
	ds_read2_b32 v[4:5], v64 offset0:122 offset1:177
	v_cmp_ne_u32_e64 s[0:1], 0, v2
	v_cndmask_b32_e64 v2, 0, 1, s[0:1]
	v_lshl_or_b32 v2, v2, 9, v22
	v_cmp_eq_u32_e64 s[0:1], s17, v7
	v_cndmask_b32_e64 v2, v10, v2, s[0:1]
	v_lshrrev_b32_e32 v6, 16, v6
	s_waitcnt lgkmcnt(0)
	v_lshrrev_b32_e32 v10, 16, v4
	v_and_or_b32 v2, v6, s18, v2
	v_mul_f16_sdwa v6, v112, v10 dst_sel:DWORD dst_unused:UNUSED_PAD src0_sel:WORD_1 src1_sel:DWORD
	v_fma_f16 v6, v112, v4, v6
	v_cvt_f32_f16_e32 v6, v6
	s_mul_i32 s0, s9, 0x7d
	s_mul_hi_u32 s1, s8, 0x7d
	s_add_i32 s1, s1, s0
	v_cvt_f64_f32_e32 v[6:7], v6
	s_mul_i32 s0, s8, 0x7d
	v_and_b32_e32 v0, 0xffff, v0
	s_lshl_b64 s[10:11], s[0:1], 2
	v_mul_f64 v[6:7], v[6:7], s[12:13]
	v_lshl_or_b32 v0, v2, 16, v0
	v_mov_b32_e32 v2, s11
	v_add_co_u32_e64 v8, s[0:1], s10, v8
	v_addc_co_u32_e64 v9, s[0:1], v9, v2, s[0:1]
	global_store_dword v[8:9], v0, off
	v_and_or_b32 v0, v7, s19, v6
	v_cmp_ne_u32_e64 s[0:1], 0, v0
	v_cndmask_b32_e64 v0, 0, 1, s[0:1]
	v_lshrrev_b32_e32 v6, 8, v7
	v_bfe_u32 v11, v7, 20, 11
	v_and_or_b32 v0, v6, s16, v0
	v_sub_u32_e32 v13, 0x3f1, v11
	v_or_b32_e32 v6, 0x1000, v0
	v_med3_i32 v13, v13, 0, 13
	v_lshrrev_b32_e32 v14, v13, v6
	v_lshlrev_b32_e32 v13, v13, v14
	v_mul_f16_sdwa v4, v112, v4 dst_sel:DWORD dst_unused:UNUSED_PAD src0_sel:WORD_1 src1_sel:DWORD
	v_cmp_ne_u32_e64 s[0:1], v13, v6
	v_fma_f16 v4, v112, v10, -v4
	v_cndmask_b32_e64 v6, 0, 1, s[0:1]
	v_add_u32_e32 v13, 0xfffffc10, v11
	v_cvt_f32_f16_e32 v4, v4
	v_or_b32_e32 v6, v14, v6
	v_lshl_or_b32 v11, v13, 12, v0
	v_cmp_gt_i32_e64 s[0:1], 1, v13
	v_cndmask_b32_e64 v6, v11, v6, s[0:1]
	v_and_b32_e32 v11, 7, v6
	v_cmp_lt_i32_e64 s[0:1], 5, v11
	v_cmp_eq_u32_e64 s[2:3], 3, v11
	v_cvt_f64_f32_e32 v[10:11], v4
	v_lshrrev_b32_e32 v6, 2, v6
	s_or_b64 s[0:1], s[2:3], s[0:1]
	v_addc_co_u32_e64 v4, s[0:1], 0, v6, s[0:1]
	v_mul_f64 v[10:11], v[10:11], s[12:13]
	v_cmp_gt_i32_e64 s[0:1], 31, v13
	v_cndmask_b32_e64 v4, v22, v4, s[0:1]
	v_cmp_ne_u32_e64 s[0:1], 0, v0
	v_cndmask_b32_e64 v0, 0, 1, s[0:1]
	v_lshl_or_b32 v0, v0, 9, v22
	v_cmp_eq_u32_e64 s[0:1], s17, v13
	v_cndmask_b32_e64 v0, v4, v0, s[0:1]
	v_lshrrev_b32_e32 v4, 16, v7
	v_and_or_b32 v0, v4, s18, v0
	v_and_or_b32 v4, v11, s19, v10
	v_cmp_ne_u32_e64 s[0:1], 0, v4
	v_cndmask_b32_e64 v4, 0, 1, s[0:1]
	v_lshrrev_b32_e32 v6, 8, v11
	v_bfe_u32 v7, v11, 20, 11
	v_and_or_b32 v4, v6, s16, v4
	v_sub_u32_e32 v10, 0x3f1, v7
	v_or_b32_e32 v6, 0x1000, v4
	v_med3_i32 v10, v10, 0, 13
	v_lshrrev_b32_e32 v13, v10, v6
	v_lshlrev_b32_e32 v10, v10, v13
	v_cmp_ne_u32_e64 s[0:1], v10, v6
	v_cndmask_b32_e64 v6, 0, 1, s[0:1]
	v_add_u32_e32 v10, 0xfffffc10, v7
	v_or_b32_e32 v6, v13, v6
	v_lshl_or_b32 v7, v10, 12, v4
	v_cmp_gt_i32_e64 s[0:1], 1, v10
	v_cndmask_b32_e64 v6, v7, v6, s[0:1]
	v_and_b32_e32 v7, 7, v6
	v_cmp_lt_i32_e64 s[0:1], 5, v7
	v_cmp_eq_u32_e64 s[2:3], 3, v7
	v_lshrrev_b32_e32 v13, 2, v6
	ds_read2_b32 v[6:7], v62 offset0:119 offset1:174
	s_or_b64 s[0:1], s[2:3], s[0:1]
	v_addc_co_u32_e64 v13, s[0:1], 0, v13, s[0:1]
	v_cmp_gt_i32_e64 s[0:1], 31, v10
	s_waitcnt lgkmcnt(0)
	v_lshrrev_b32_e32 v16, 16, v6
	v_cndmask_b32_e64 v15, v22, v13, s[0:1]
	v_mul_f16_sdwa v13, v111, v16 dst_sel:DWORD dst_unused:UNUSED_PAD src0_sel:WORD_1 src1_sel:DWORD
	v_fma_f16 v13, v111, v6, v13
	v_cvt_f32_f16_e32 v13, v13
	v_cmp_ne_u32_e64 s[0:1], 0, v4
	v_cndmask_b32_e64 v4, 0, 1, s[0:1]
	v_lshl_or_b32 v4, v4, 9, v22
	v_cvt_f64_f32_e32 v[13:14], v13
	v_cmp_eq_u32_e64 s[0:1], s17, v10
	v_cndmask_b32_e64 v4, v15, v4, s[0:1]
	v_lshrrev_b32_e32 v10, 16, v11
	v_and_or_b32 v4, v10, s18, v4
	v_mul_f64 v[10:11], v[13:14], s[12:13]
	v_and_b32_e32 v0, 0xffff, v0
	v_add_co_u32_e64 v13, s[0:1], s10, v8
	v_lshl_or_b32 v0, v4, 16, v0
	v_addc_co_u32_e64 v14, s[0:1], v9, v2, s[0:1]
	global_store_dword v[13:14], v0, off
	v_and_or_b32 v0, v11, s19, v10
	v_cmp_ne_u32_e64 s[0:1], 0, v0
	v_cndmask_b32_e64 v0, 0, 1, s[0:1]
	v_lshrrev_b32_e32 v4, 8, v11
	v_bfe_u32 v8, v11, 20, 11
	v_and_or_b32 v0, v4, s16, v0
	v_sub_u32_e32 v9, 0x3f1, v8
	v_or_b32_e32 v4, 0x1000, v0
	v_med3_i32 v9, v9, 0, 13
	v_lshrrev_b32_e32 v10, v9, v4
	v_lshlrev_b32_e32 v9, v9, v10
	v_mul_f16_sdwa v6, v111, v6 dst_sel:DWORD dst_unused:UNUSED_PAD src0_sel:WORD_1 src1_sel:DWORD
	v_cmp_ne_u32_e64 s[0:1], v9, v4
	v_fma_f16 v6, v111, v16, -v6
	v_cndmask_b32_e64 v4, 0, 1, s[0:1]
	v_add_u32_e32 v15, 0xfffffc10, v8
	v_cvt_f32_f16_e32 v6, v6
	v_or_b32_e32 v4, v10, v4
	v_lshl_or_b32 v8, v15, 12, v0
	v_cmp_gt_i32_e64 s[0:1], 1, v15
	v_cndmask_b32_e64 v4, v8, v4, s[0:1]
	v_and_b32_e32 v8, 7, v4
	v_cmp_lt_i32_e64 s[0:1], 5, v8
	v_cmp_eq_u32_e64 s[2:3], 3, v8
	v_cvt_f64_f32_e32 v[8:9], v6
	v_lshrrev_b32_e32 v4, 2, v4
	s_or_b64 s[0:1], s[2:3], s[0:1]
	v_addc_co_u32_e64 v4, s[0:1], 0, v4, s[0:1]
	v_mul_f64 v[9:10], v[8:9], s[12:13]
	v_cmp_gt_i32_e64 s[0:1], 31, v15
	v_cndmask_b32_e64 v4, v22, v4, s[0:1]
	v_cmp_ne_u32_e64 s[0:1], 0, v0
	v_cndmask_b32_e64 v0, 0, 1, s[0:1]
	v_lshl_or_b32 v0, v0, 9, v22
	v_cmp_eq_u32_e64 s[0:1], s17, v15
	v_cndmask_b32_e64 v0, v4, v0, s[0:1]
	v_lshrrev_b32_e32 v4, 16, v11
	v_and_or_b32 v0, v4, s18, v0
	v_and_or_b32 v4, v10, s19, v9
	v_cmp_ne_u32_e64 s[0:1], 0, v4
	v_cndmask_b32_e64 v4, 0, 1, s[0:1]
	v_lshrrev_b32_e32 v6, 8, v10
	v_bfe_u32 v8, v10, 20, 11
	v_and_or_b32 v4, v6, s16, v4
	v_sub_u32_e32 v9, 0x3f1, v8
	v_or_b32_e32 v6, 0x1000, v4
	v_med3_i32 v9, v9, 0, 13
	v_lshrrev_b32_e32 v11, v9, v6
	v_lshlrev_b32_e32 v9, v9, v11
	v_cmp_ne_u32_e64 s[0:1], v9, v6
	v_cndmask_b32_e64 v6, 0, 1, s[0:1]
	v_or_b32_e32 v6, v11, v6
	v_add_u32_e32 v11, 0xfffffc10, v8
	v_lshl_or_b32 v8, v11, 12, v4
	v_cmp_gt_i32_e64 s[0:1], 1, v11
	v_cndmask_b32_e64 v6, v8, v6, s[0:1]
	v_and_b32_e32 v8, 7, v6
	v_cmp_lt_i32_e64 s[0:1], 5, v8
	v_cmp_eq_u32_e64 s[2:3], 3, v8
	v_add_u32_e32 v8, 0x600, v91
	ds_read2_b32 v[8:9], v8 offset0:116 offset1:171
	v_lshrrev_b32_e32 v6, 2, v6
	s_or_b64 s[0:1], s[2:3], s[0:1]
	v_addc_co_u32_e64 v6, s[0:1], 0, v6, s[0:1]
	s_waitcnt lgkmcnt(0)
	v_lshrrev_b32_e32 v17, 16, v8
	v_mul_f16_sdwa v15, v110, v17 dst_sel:DWORD dst_unused:UNUSED_PAD src0_sel:WORD_1 src1_sel:DWORD
	v_fma_f16 v15, v110, v8, v15
	v_cvt_f32_f16_e32 v15, v15
	v_cmp_gt_i32_e64 s[0:1], 31, v11
	v_cndmask_b32_e64 v6, v22, v6, s[0:1]
	v_cmp_ne_u32_e64 s[0:1], 0, v4
	v_cvt_f64_f32_e32 v[15:16], v15
	v_cndmask_b32_e64 v4, 0, 1, s[0:1]
	v_lshl_or_b32 v4, v4, 9, v22
	v_cmp_eq_u32_e64 s[0:1], s17, v11
	v_cndmask_b32_e64 v4, v6, v4, s[0:1]
	v_lshrrev_b32_e32 v6, 16, v10
	v_mul_f64 v[10:11], v[15:16], s[12:13]
	v_and_or_b32 v4, v6, s18, v4
	v_and_b32_e32 v0, 0xffff, v0
	v_add_co_u32_e64 v13, s[0:1], s10, v13
	v_lshl_or_b32 v0, v4, 16, v0
	v_addc_co_u32_e64 v14, s[0:1], v14, v2, s[0:1]
	global_store_dword v[13:14], v0, off
	v_and_or_b32 v0, v11, s19, v10
	v_cmp_ne_u32_e64 s[0:1], 0, v0
	v_cndmask_b32_e64 v0, 0, 1, s[0:1]
	v_lshrrev_b32_e32 v4, 8, v11
	v_bfe_u32 v6, v11, 20, 11
	v_and_or_b32 v0, v4, s16, v0
	v_sub_u32_e32 v10, 0x3f1, v6
	v_mul_f16_sdwa v8, v110, v8 dst_sel:DWORD dst_unused:UNUSED_PAD src0_sel:WORD_1 src1_sel:DWORD
	v_or_b32_e32 v4, 0x1000, v0
	v_med3_i32 v10, v10, 0, 13
	v_fma_f16 v8, v110, v17, -v8
	v_lshrrev_b32_e32 v15, v10, v4
	v_cvt_f32_f16_e32 v8, v8
	v_lshlrev_b32_e32 v10, v10, v15
	v_cmp_ne_u32_e64 s[0:1], v10, v4
	v_cndmask_b32_e64 v4, 0, 1, s[0:1]
	v_or_b32_e32 v4, v15, v4
	v_add_u32_e32 v6, 0xfffffc10, v6
	v_cvt_f64_f32_e32 v[15:16], v8
	v_lshl_or_b32 v10, v6, 12, v0
	v_cmp_gt_i32_e64 s[0:1], 1, v6
	v_cndmask_b32_e64 v4, v10, v4, s[0:1]
	v_and_b32_e32 v10, 7, v4
	v_cmp_lt_i32_e64 s[0:1], 5, v10
	v_cmp_eq_u32_e64 s[2:3], 3, v10
	v_mul_f64 v[15:16], v[15:16], s[12:13]
	v_lshrrev_b32_e32 v4, 2, v4
	s_or_b64 s[0:1], s[2:3], s[0:1]
	v_addc_co_u32_e64 v4, s[0:1], 0, v4, s[0:1]
	v_cmp_gt_i32_e64 s[0:1], 31, v6
	v_cndmask_b32_e64 v4, v22, v4, s[0:1]
	v_cmp_ne_u32_e64 s[0:1], 0, v0
	v_cndmask_b32_e64 v0, 0, 1, s[0:1]
	v_lshl_or_b32 v0, v0, 9, v22
	v_cmp_eq_u32_e64 s[0:1], s17, v6
	v_cndmask_b32_e64 v0, v4, v0, s[0:1]
	v_lshrrev_b32_e32 v4, 16, v11
	v_and_or_b32 v0, v4, s18, v0
	v_and_or_b32 v4, v16, s19, v15
	v_cmp_ne_u32_e64 s[0:1], 0, v4
	v_cndmask_b32_e64 v4, 0, 1, s[0:1]
	v_lshrrev_b32_e32 v6, 8, v16
	v_bfe_u32 v8, v16, 20, 11
	v_and_or_b32 v4, v6, s16, v4
	v_sub_u32_e32 v10, 0x3f1, v8
	v_or_b32_e32 v6, 0x1000, v4
	v_med3_i32 v10, v10, 0, 13
	v_lshrrev_b32_e32 v11, v10, v6
	v_lshlrev_b32_e32 v10, v10, v11
	v_cmp_ne_u32_e64 s[0:1], v10, v6
	v_cndmask_b32_e64 v6, 0, 1, s[0:1]
	v_add_u32_e32 v8, 0xfffffc10, v8
	v_or_b32_e32 v6, v11, v6
	v_lshl_or_b32 v10, v8, 12, v4
	v_cmp_gt_i32_e64 s[0:1], 1, v8
	v_cndmask_b32_e64 v6, v10, v6, s[0:1]
	v_and_b32_e32 v10, 7, v6
	v_cmp_lt_i32_e64 s[0:1], 5, v10
	v_cmp_eq_u32_e64 s[2:3], 3, v10
	ds_read2_b32 v[10:11], v61 offset0:113 offset1:168
	v_lshrrev_b32_e32 v6, 2, v6
	s_or_b64 s[0:1], s[2:3], s[0:1]
	v_addc_co_u32_e64 v6, s[0:1], 0, v6, s[0:1]
	s_waitcnt lgkmcnt(0)
	v_lshrrev_b32_e32 v19, 16, v10
	v_mul_f16_sdwa v15, v109, v19 dst_sel:DWORD dst_unused:UNUSED_PAD src0_sel:WORD_1 src1_sel:DWORD
	v_fma_f16 v15, v109, v10, v15
	v_cvt_f32_f16_e32 v15, v15
	v_cmp_gt_i32_e64 s[0:1], 31, v8
	v_cndmask_b32_e64 v6, v22, v6, s[0:1]
	v_cmp_ne_u32_e64 s[0:1], 0, v4
	v_cvt_f64_f32_e32 v[17:18], v15
	v_cndmask_b32_e64 v4, 0, 1, s[0:1]
	v_lshl_or_b32 v4, v4, 9, v22
	v_cmp_eq_u32_e64 s[0:1], s17, v8
	v_cndmask_b32_e64 v4, v6, v4, s[0:1]
	v_lshrrev_b32_e32 v6, 16, v16
	v_mul_f64 v[15:16], v[17:18], s[12:13]
	v_and_or_b32 v4, v6, s18, v4
	v_and_b32_e32 v0, 0xffff, v0
	v_add_co_u32_e64 v17, s[0:1], s10, v13
	v_lshl_or_b32 v0, v4, 16, v0
	v_addc_co_u32_e64 v18, s[0:1], v14, v2, s[0:1]
	global_store_dword v[17:18], v0, off
	v_and_or_b32 v0, v16, s19, v15
	v_cmp_ne_u32_e64 s[0:1], 0, v0
	v_cndmask_b32_e64 v0, 0, 1, s[0:1]
	v_lshrrev_b32_e32 v4, 8, v16
	v_bfe_u32 v6, v16, 20, 11
	v_and_or_b32 v0, v4, s16, v0
	v_sub_u32_e32 v8, 0x3f1, v6
	v_mul_f16_sdwa v10, v109, v10 dst_sel:DWORD dst_unused:UNUSED_PAD src0_sel:WORD_1 src1_sel:DWORD
	v_or_b32_e32 v4, 0x1000, v0
	v_med3_i32 v8, v8, 0, 13
	v_fma_f16 v10, v109, v19, -v10
	v_lshrrev_b32_e32 v13, v8, v4
	v_cvt_f32_f16_e32 v10, v10
	v_lshlrev_b32_e32 v8, v8, v13
	v_cmp_ne_u32_e64 s[0:1], v8, v4
	v_cndmask_b32_e64 v4, 0, 1, s[0:1]
	v_or_b32_e32 v4, v13, v4
	v_add_u32_e32 v6, 0xfffffc10, v6
	v_cvt_f64_f32_e32 v[13:14], v10
	v_lshl_or_b32 v8, v6, 12, v0
	v_cmp_gt_i32_e64 s[0:1], 1, v6
	v_cndmask_b32_e64 v4, v8, v4, s[0:1]
	v_and_b32_e32 v8, 7, v4
	v_cmp_lt_i32_e64 s[0:1], 5, v8
	v_cmp_eq_u32_e64 s[2:3], 3, v8
	v_mul_f64 v[13:14], v[13:14], s[12:13]
	v_lshrrev_b32_e32 v4, 2, v4
	s_or_b64 s[0:1], s[2:3], s[0:1]
	v_addc_co_u32_e64 v4, s[0:1], 0, v4, s[0:1]
	v_cmp_gt_i32_e64 s[0:1], 31, v6
	v_cndmask_b32_e64 v4, v22, v4, s[0:1]
	v_cmp_ne_u32_e64 s[0:1], 0, v0
	v_cndmask_b32_e64 v0, 0, 1, s[0:1]
	v_lshl_or_b32 v0, v0, 9, v22
	v_cmp_eq_u32_e64 s[0:1], s17, v6
	v_cndmask_b32_e64 v0, v4, v0, s[0:1]
	v_lshrrev_b32_e32 v4, 16, v16
	v_and_or_b32 v0, v4, s18, v0
	v_and_or_b32 v4, v14, s19, v13
	v_cmp_ne_u32_e64 s[0:1], 0, v4
	v_cndmask_b32_e64 v4, 0, 1, s[0:1]
	v_lshrrev_b32_e32 v6, 8, v14
	v_bfe_u32 v8, v14, 20, 11
	v_and_or_b32 v4, v6, s16, v4
	v_sub_u32_e32 v10, 0x3f1, v8
	v_or_b32_e32 v6, 0x1000, v4
	v_med3_i32 v10, v10, 0, 13
	v_lshrrev_b32_e32 v13, v10, v6
	v_lshlrev_b32_e32 v10, v10, v13
	v_cmp_ne_u32_e64 s[0:1], v10, v6
	v_cndmask_b32_e64 v6, 0, 1, s[0:1]
	v_or_b32_e32 v6, v13, v6
	ds_read2_b32 v[12:13], v12 offset0:110 offset1:165
	v_add_u32_e32 v8, 0xfffffc10, v8
	v_lshl_or_b32 v10, v8, 12, v4
	v_cmp_gt_i32_e64 s[0:1], 1, v8
	v_cndmask_b32_e64 v6, v10, v6, s[0:1]
	v_and_b32_e32 v10, 7, v6
	v_cmp_lt_i32_e64 s[0:1], 5, v10
	v_cmp_eq_u32_e64 s[2:3], 3, v10
	s_waitcnt lgkmcnt(0)
	v_lshrrev_b32_e32 v10, 16, v12
	v_mul_f16_sdwa v15, v108, v10 dst_sel:DWORD dst_unused:UNUSED_PAD src0_sel:WORD_1 src1_sel:DWORD
	v_fma_f16 v15, v108, v12, v15
	v_cvt_f32_f16_e32 v15, v15
	v_lshrrev_b32_e32 v6, 2, v6
	s_or_b64 s[0:1], s[2:3], s[0:1]
	v_addc_co_u32_e64 v6, s[0:1], 0, v6, s[0:1]
	v_cmp_gt_i32_e64 s[0:1], 31, v8
	v_cvt_f64_f32_e32 v[15:16], v15
	v_cndmask_b32_e64 v6, v22, v6, s[0:1]
	v_cmp_ne_u32_e64 s[0:1], 0, v4
	v_cndmask_b32_e64 v4, 0, 1, s[0:1]
	v_lshl_or_b32 v4, v4, 9, v22
	v_cmp_eq_u32_e64 s[0:1], s17, v8
	v_cndmask_b32_e64 v4, v6, v4, s[0:1]
	v_lshrrev_b32_e32 v6, 16, v14
	v_mul_f64 v[14:15], v[15:16], s[12:13]
	v_and_or_b32 v4, v6, s18, v4
	v_and_b32_e32 v0, 0xffff, v0
	v_add_co_u32_e64 v16, s[0:1], s10, v17
	v_lshl_or_b32 v0, v4, 16, v0
	v_addc_co_u32_e64 v17, s[0:1], v18, v2, s[0:1]
	global_store_dword v[16:17], v0, off
	v_and_or_b32 v0, v15, s19, v14
	v_cmp_ne_u32_e64 s[0:1], 0, v0
	v_cndmask_b32_e64 v0, 0, 1, s[0:1]
	v_lshrrev_b32_e32 v4, 8, v15
	v_bfe_u32 v6, v15, 20, 11
	v_mul_f16_sdwa v12, v108, v12 dst_sel:DWORD dst_unused:UNUSED_PAD src0_sel:WORD_1 src1_sel:DWORD
	v_and_or_b32 v0, v4, s16, v0
	v_sub_u32_e32 v8, 0x3f1, v6
	v_fma_f16 v10, v108, v10, -v12
	v_or_b32_e32 v4, 0x1000, v0
	v_med3_i32 v8, v8, 0, 13
	v_cvt_f32_f16_e32 v10, v10
	v_lshrrev_b32_e32 v14, v8, v4
	v_lshlrev_b32_e32 v8, v8, v14
	v_cmp_ne_u32_e64 s[0:1], v8, v4
	v_cndmask_b32_e64 v4, 0, 1, s[0:1]
	v_add_u32_e32 v6, 0xfffffc10, v6
	v_cvt_f64_f32_e32 v[18:19], v10
	v_or_b32_e32 v4, v14, v4
	v_lshl_or_b32 v8, v6, 12, v0
	v_cmp_gt_i32_e64 s[0:1], 1, v6
	v_cndmask_b32_e64 v4, v8, v4, s[0:1]
	v_and_b32_e32 v8, 7, v4
	v_cmp_lt_i32_e64 s[0:1], 5, v8
	v_cmp_eq_u32_e64 s[2:3], 3, v8
	v_mul_f64 v[18:19], v[18:19], s[12:13]
	v_lshrrev_b32_e32 v4, 2, v4
	s_or_b64 s[0:1], s[2:3], s[0:1]
	v_addc_co_u32_e64 v4, s[0:1], 0, v4, s[0:1]
	v_cmp_gt_i32_e64 s[0:1], 31, v6
	v_cndmask_b32_e64 v4, v22, v4, s[0:1]
	v_cmp_ne_u32_e64 s[0:1], 0, v0
	v_cndmask_b32_e64 v0, 0, 1, s[0:1]
	v_lshl_or_b32 v0, v0, 9, v22
	v_cmp_eq_u32_e64 s[0:1], s17, v6
	v_cndmask_b32_e64 v0, v4, v0, s[0:1]
	v_lshrrev_b32_e32 v4, 16, v15
	v_and_or_b32 v0, v4, s18, v0
	v_and_or_b32 v4, v19, s19, v18
	v_cmp_ne_u32_e64 s[0:1], 0, v4
	v_cndmask_b32_e64 v4, 0, 1, s[0:1]
	v_lshrrev_b32_e32 v6, 8, v19
	v_bfe_u32 v8, v19, 20, 11
	v_and_or_b32 v4, v6, s16, v4
	v_sub_u32_e32 v10, 0x3f1, v8
	v_or_b32_e32 v6, 0x1000, v4
	v_med3_i32 v10, v10, 0, 13
	v_lshrrev_b32_e32 v12, v10, v6
	v_lshlrev_b32_e32 v10, v10, v12
	v_cmp_ne_u32_e64 s[0:1], v10, v6
	ds_read2_b32 v[14:15], v60 offset0:107 offset1:162
	v_cndmask_b32_e64 v6, 0, 1, s[0:1]
	v_add_u32_e32 v8, 0xfffffc10, v8
	v_or_b32_e32 v6, v12, v6
	v_lshl_or_b32 v10, v8, 12, v4
	v_cmp_gt_i32_e64 s[0:1], 1, v8
	v_cndmask_b32_e64 v6, v10, v6, s[0:1]
	v_and_b32_e32 v10, 7, v6
	v_cmp_lt_i32_e64 s[0:1], 5, v10
	v_cmp_eq_u32_e64 s[2:3], 3, v10
	s_waitcnt lgkmcnt(0)
	v_lshrrev_b32_e32 v10, 16, v14
	v_mul_f16_sdwa v12, v106, v10 dst_sel:DWORD dst_unused:UNUSED_PAD src0_sel:WORD_1 src1_sel:DWORD
	v_fma_f16 v12, v106, v14, v12
	v_cvt_f32_f16_e32 v12, v12
	v_lshrrev_b32_e32 v6, 2, v6
	s_or_b64 s[0:1], s[2:3], s[0:1]
	v_addc_co_u32_e64 v6, s[0:1], 0, v6, s[0:1]
	v_cmp_gt_i32_e64 s[0:1], 31, v8
	v_cvt_f64_f32_e32 v[25:26], v12
	v_cndmask_b32_e64 v6, v22, v6, s[0:1]
	v_cmp_ne_u32_e64 s[0:1], 0, v4
	v_cndmask_b32_e64 v4, 0, 1, s[0:1]
	v_lshl_or_b32 v4, v4, 9, v22
	v_cmp_eq_u32_e64 s[0:1], s17, v8
	v_cndmask_b32_e64 v4, v6, v4, s[0:1]
	v_lshrrev_b32_e32 v6, 16, v19
	v_mul_f64 v[18:19], v[25:26], s[12:13]
	v_and_or_b32 v4, v6, s18, v4
	v_and_b32_e32 v0, 0xffff, v0
	v_add_co_u32_e64 v25, s[0:1], s10, v16
	v_lshl_or_b32 v0, v4, 16, v0
	v_addc_co_u32_e64 v26, s[0:1], v17, v2, s[0:1]
	global_store_dword v[25:26], v0, off
	v_and_or_b32 v0, v19, s19, v18
	v_cmp_ne_u32_e64 s[0:1], 0, v0
	v_cndmask_b32_e64 v0, 0, 1, s[0:1]
	v_lshrrev_b32_e32 v4, 8, v19
	v_bfe_u32 v6, v19, 20, 11
	v_and_or_b32 v0, v4, s16, v0
	v_sub_u32_e32 v8, 0x3f1, v6
	v_or_b32_e32 v4, 0x1000, v0
	v_med3_i32 v8, v8, 0, 13
	v_lshrrev_b32_e32 v12, v8, v4
	v_lshlrev_b32_e32 v8, v8, v12
	v_cmp_ne_u32_e64 s[0:1], v8, v4
	v_cndmask_b32_e64 v4, 0, 1, s[0:1]
	v_or_b32_e32 v4, v12, v4
	v_mul_f16_sdwa v12, v106, v14 dst_sel:DWORD dst_unused:UNUSED_PAD src0_sel:WORD_1 src1_sel:DWORD
	v_fma_f16 v10, v106, v10, -v12
	v_cvt_f32_f16_e32 v10, v10
	v_add_u32_e32 v6, 0xfffffc10, v6
	v_lshl_or_b32 v8, v6, 12, v0
	v_cmp_gt_i32_e64 s[0:1], 1, v6
	v_cvt_f64_f32_e32 v[16:17], v10
	v_cndmask_b32_e64 v4, v8, v4, s[0:1]
	v_and_b32_e32 v8, 7, v4
	v_cmp_lt_i32_e64 s[0:1], 5, v8
	v_cmp_eq_u32_e64 s[2:3], 3, v8
	v_mul_f64 v[17:18], v[16:17], s[12:13]
	v_lshrrev_b32_e32 v4, 2, v4
	s_or_b64 s[0:1], s[2:3], s[0:1]
	v_addc_co_u32_e64 v4, s[0:1], 0, v4, s[0:1]
	v_cmp_gt_i32_e64 s[0:1], 31, v6
	v_cndmask_b32_e64 v4, v22, v4, s[0:1]
	v_cmp_ne_u32_e64 s[0:1], 0, v0
	v_cndmask_b32_e64 v0, 0, 1, s[0:1]
	v_lshl_or_b32 v0, v0, 9, v22
	v_cmp_eq_u32_e64 s[0:1], s17, v6
	v_cndmask_b32_e64 v0, v4, v0, s[0:1]
	v_lshrrev_b32_e32 v4, 16, v19
	v_and_or_b32 v0, v4, s18, v0
	v_and_or_b32 v4, v18, s19, v17
	v_cmp_ne_u32_e64 s[0:1], 0, v4
	v_cndmask_b32_e64 v4, 0, 1, s[0:1]
	v_lshrrev_b32_e32 v6, 8, v18
	v_bfe_u32 v8, v18, 20, 11
	v_and_or_b32 v4, v6, s16, v4
	v_sub_u32_e32 v10, 0x3f1, v8
	v_or_b32_e32 v6, 0x1000, v4
	v_med3_i32 v10, v10, 0, 13
	v_lshrrev_b32_e32 v12, v10, v6
	v_lshlrev_b32_e32 v10, v10, v12
	v_cmp_ne_u32_e64 s[0:1], v10, v6
	ds_read2_b32 v[16:17], v63 offset0:104 offset1:159
	v_cndmask_b32_e64 v6, 0, 1, s[0:1]
	v_add_u32_e32 v8, 0xfffffc10, v8
	v_or_b32_e32 v6, v12, v6
	v_lshl_or_b32 v10, v8, 12, v4
	v_cmp_gt_i32_e64 s[0:1], 1, v8
	v_cndmask_b32_e64 v6, v10, v6, s[0:1]
	v_and_b32_e32 v10, 7, v6
	v_cmp_lt_i32_e64 s[0:1], 5, v10
	v_cmp_eq_u32_e64 s[2:3], 3, v10
	s_waitcnt lgkmcnt(0)
	v_lshrrev_b32_e32 v10, 16, v16
	v_mul_f16_sdwa v12, v107, v10 dst_sel:DWORD dst_unused:UNUSED_PAD src0_sel:WORD_1 src1_sel:DWORD
	v_fma_f16 v12, v107, v16, v12
	v_cvt_f32_f16_e32 v12, v12
	v_lshrrev_b32_e32 v6, 2, v6
	s_or_b64 s[0:1], s[2:3], s[0:1]
	v_addc_co_u32_e64 v6, s[0:1], 0, v6, s[0:1]
	v_cmp_gt_i32_e64 s[0:1], 31, v8
	v_cvt_f64_f32_e32 v[27:28], v12
	v_cndmask_b32_e64 v6, v22, v6, s[0:1]
	v_cmp_ne_u32_e64 s[0:1], 0, v4
	v_cndmask_b32_e64 v4, 0, 1, s[0:1]
	v_lshl_or_b32 v4, v4, 9, v22
	v_cmp_eq_u32_e64 s[0:1], s17, v8
	v_cndmask_b32_e64 v4, v6, v4, s[0:1]
	v_lshrrev_b32_e32 v6, 16, v18
	v_mul_f64 v[18:19], v[27:28], s[12:13]
	v_and_or_b32 v4, v6, s18, v4
	v_and_b32_e32 v0, 0xffff, v0
	v_add_co_u32_e64 v25, s[0:1], s10, v25
	v_lshl_or_b32 v0, v4, 16, v0
	v_addc_co_u32_e64 v26, s[0:1], v26, v2, s[0:1]
	global_store_dword v[25:26], v0, off
	v_and_or_b32 v0, v19, s19, v18
	v_cmp_ne_u32_e64 s[0:1], 0, v0
	v_cndmask_b32_e64 v0, 0, 1, s[0:1]
	v_lshrrev_b32_e32 v4, 8, v19
	v_bfe_u32 v6, v19, 20, 11
	v_and_or_b32 v0, v4, s16, v0
	v_sub_u32_e32 v8, 0x3f1, v6
	v_or_b32_e32 v4, 0x1000, v0
	v_med3_i32 v8, v8, 0, 13
	v_lshrrev_b32_e32 v12, v8, v4
	v_lshlrev_b32_e32 v8, v8, v12
	v_cmp_ne_u32_e64 s[0:1], v8, v4
	v_cndmask_b32_e64 v4, 0, 1, s[0:1]
	v_or_b32_e32 v4, v12, v4
	v_mul_f16_sdwa v12, v107, v16 dst_sel:DWORD dst_unused:UNUSED_PAD src0_sel:WORD_1 src1_sel:DWORD
	v_fma_f16 v10, v107, v10, -v12
	v_cvt_f32_f16_e32 v10, v10
	v_add_u32_e32 v6, 0xfffffc10, v6
	v_lshl_or_b32 v8, v6, 12, v0
	v_cmp_gt_i32_e64 s[0:1], 1, v6
	v_cvt_f64_f32_e32 v[27:28], v10
	v_cndmask_b32_e64 v4, v8, v4, s[0:1]
	v_and_b32_e32 v8, 7, v4
	v_cmp_lt_i32_e64 s[0:1], 5, v8
	v_cmp_eq_u32_e64 s[2:3], 3, v8
	v_mul_f64 v[27:28], v[27:28], s[12:13]
	v_lshrrev_b32_e32 v4, 2, v4
	s_or_b64 s[0:1], s[2:3], s[0:1]
	v_addc_co_u32_e64 v4, s[0:1], 0, v4, s[0:1]
	v_cmp_gt_i32_e64 s[0:1], 31, v6
	v_cndmask_b32_e64 v4, v22, v4, s[0:1]
	v_cmp_ne_u32_e64 s[0:1], 0, v0
	v_cndmask_b32_e64 v0, 0, 1, s[0:1]
	v_lshl_or_b32 v0, v0, 9, v22
	v_cmp_eq_u32_e64 s[0:1], s17, v6
	v_cndmask_b32_e64 v0, v4, v0, s[0:1]
	v_lshrrev_b32_e32 v4, 16, v19
	v_and_or_b32 v0, v4, s18, v0
	v_and_or_b32 v4, v28, s19, v27
	v_cmp_ne_u32_e64 s[0:1], 0, v4
	v_cndmask_b32_e64 v4, 0, 1, s[0:1]
	v_lshrrev_b32_e32 v6, 8, v28
	v_bfe_u32 v8, v28, 20, 11
	v_and_or_b32 v4, v6, s16, v4
	v_sub_u32_e32 v10, 0x3f1, v8
	v_or_b32_e32 v6, 0x1000, v4
	v_med3_i32 v10, v10, 0, 13
	v_lshrrev_b32_e32 v12, v10, v6
	v_lshlrev_b32_e32 v10, v10, v12
	v_cmp_ne_u32_e64 s[0:1], v10, v6
	ds_read2_b32 v[18:19], v59 offset0:101 offset1:156
	v_cndmask_b32_e64 v6, 0, 1, s[0:1]
	v_add_u32_e32 v8, 0xfffffc10, v8
	v_or_b32_e32 v6, v12, v6
	v_lshl_or_b32 v10, v8, 12, v4
	v_cmp_gt_i32_e64 s[0:1], 1, v8
	v_cndmask_b32_e64 v6, v10, v6, s[0:1]
	v_and_b32_e32 v10, 7, v6
	v_cmp_lt_i32_e64 s[0:1], 5, v10
	v_cmp_eq_u32_e64 s[2:3], 3, v10
	s_waitcnt lgkmcnt(0)
	v_lshrrev_b32_e32 v10, 16, v18
	v_mul_f16_sdwa v12, v105, v10 dst_sel:DWORD dst_unused:UNUSED_PAD src0_sel:WORD_1 src1_sel:DWORD
	v_fma_f16 v12, v105, v18, v12
	v_cvt_f32_f16_e32 v12, v12
	v_lshrrev_b32_e32 v6, 2, v6
	s_or_b64 s[0:1], s[2:3], s[0:1]
	v_addc_co_u32_e64 v6, s[0:1], 0, v6, s[0:1]
	v_cmp_gt_i32_e64 s[0:1], 31, v8
	v_cvt_f64_f32_e32 v[29:30], v12
	v_cndmask_b32_e64 v6, v22, v6, s[0:1]
	v_cmp_ne_u32_e64 s[0:1], 0, v4
	v_cndmask_b32_e64 v4, 0, 1, s[0:1]
	v_lshl_or_b32 v4, v4, 9, v22
	v_cmp_eq_u32_e64 s[0:1], s17, v8
	v_cndmask_b32_e64 v4, v6, v4, s[0:1]
	v_lshrrev_b32_e32 v6, 16, v28
	v_mul_f64 v[27:28], v[29:30], s[12:13]
	v_and_or_b32 v4, v6, s18, v4
	v_and_b32_e32 v0, 0xffff, v0
	v_add_co_u32_e64 v25, s[0:1], s10, v25
	v_lshl_or_b32 v0, v4, 16, v0
	v_addc_co_u32_e64 v26, s[0:1], v26, v2, s[0:1]
	global_store_dword v[25:26], v0, off
	v_and_or_b32 v0, v28, s19, v27
	v_cmp_ne_u32_e64 s[0:1], 0, v0
	v_cndmask_b32_e64 v0, 0, 1, s[0:1]
	v_lshrrev_b32_e32 v4, 8, v28
	v_bfe_u32 v6, v28, 20, 11
	v_and_or_b32 v0, v4, s16, v0
	v_sub_u32_e32 v8, 0x3f1, v6
	v_or_b32_e32 v4, 0x1000, v0
	v_med3_i32 v8, v8, 0, 13
	v_lshrrev_b32_e32 v12, v8, v4
	v_lshlrev_b32_e32 v8, v8, v12
	v_cmp_ne_u32_e64 s[0:1], v8, v4
	v_cndmask_b32_e64 v4, 0, 1, s[0:1]
	v_or_b32_e32 v4, v12, v4
	v_mul_f16_sdwa v12, v105, v18 dst_sel:DWORD dst_unused:UNUSED_PAD src0_sel:WORD_1 src1_sel:DWORD
	v_fma_f16 v10, v105, v10, -v12
	v_cvt_f32_f16_e32 v10, v10
	v_add_u32_e32 v6, 0xfffffc10, v6
	v_lshl_or_b32 v8, v6, 12, v0
	v_cmp_gt_i32_e64 s[0:1], 1, v6
	v_cvt_f64_f32_e32 v[29:30], v10
	v_cndmask_b32_e64 v4, v8, v4, s[0:1]
	v_and_b32_e32 v8, 7, v4
	v_cmp_lt_i32_e64 s[0:1], 5, v8
	v_cmp_eq_u32_e64 s[2:3], 3, v8
	v_mul_f64 v[29:30], v[29:30], s[12:13]
	v_lshrrev_b32_e32 v4, 2, v4
	s_or_b64 s[0:1], s[2:3], s[0:1]
	v_addc_co_u32_e64 v4, s[0:1], 0, v4, s[0:1]
	v_cmp_gt_i32_e64 s[0:1], 31, v6
	v_cndmask_b32_e64 v4, v22, v4, s[0:1]
	v_cmp_ne_u32_e64 s[0:1], 0, v0
	v_cndmask_b32_e64 v0, 0, 1, s[0:1]
	v_lshl_or_b32 v0, v0, 9, v22
	v_cmp_eq_u32_e64 s[0:1], s17, v6
	v_cndmask_b32_e64 v0, v4, v0, s[0:1]
	v_lshrrev_b32_e32 v4, 16, v28
	v_and_or_b32 v0, v4, s18, v0
	v_and_or_b32 v4, v30, s19, v29
	v_cmp_ne_u32_e64 s[0:1], 0, v4
	v_cndmask_b32_e64 v4, 0, 1, s[0:1]
	v_lshrrev_b32_e32 v6, 8, v30
	v_bfe_u32 v8, v30, 20, 11
	v_and_or_b32 v4, v6, s16, v4
	v_sub_u32_e32 v10, 0x3f1, v8
	v_or_b32_e32 v6, 0x1000, v4
	v_med3_i32 v10, v10, 0, 13
	v_lshrrev_b32_e32 v12, v10, v6
	v_lshlrev_b32_e32 v10, v10, v12
	v_cmp_ne_u32_e64 s[0:1], v10, v6
	v_cndmask_b32_e64 v6, 0, 1, s[0:1]
	v_add_u32_e32 v8, 0xfffffc10, v8
	v_or_b32_e32 v6, v12, v6
	v_lshl_or_b32 v10, v8, 12, v4
	v_cmp_gt_i32_e64 s[0:1], 1, v8
	v_cndmask_b32_e64 v6, v10, v6, s[0:1]
	v_and_b32_e32 v10, 7, v6
	v_cmp_lt_i32_e64 s[0:1], 5, v10
	v_cmp_eq_u32_e64 s[2:3], 3, v10
	v_lshrrev_b32_e32 v10, 16, v20
	v_mul_f16_sdwa v12, v104, v10 dst_sel:DWORD dst_unused:UNUSED_PAD src0_sel:WORD_1 src1_sel:DWORD
	v_fma_f16 v12, v104, v20, v12
	v_cvt_f32_f16_e32 v12, v12
	v_lshrrev_b32_e32 v6, 2, v6
	s_or_b64 s[0:1], s[2:3], s[0:1]
	v_addc_co_u32_e64 v6, s[0:1], 0, v6, s[0:1]
	v_cvt_f64_f32_e32 v[27:28], v12
	v_cmp_gt_i32_e64 s[0:1], 31, v8
	v_cndmask_b32_e64 v6, v22, v6, s[0:1]
	v_cmp_ne_u32_e64 s[0:1], 0, v4
	v_mul_f64 v[27:28], v[27:28], s[12:13]
	v_cndmask_b32_e64 v4, 0, 1, s[0:1]
	v_lshl_or_b32 v4, v4, 9, v22
	v_cmp_eq_u32_e64 s[0:1], s17, v8
	v_cndmask_b32_e64 v4, v6, v4, s[0:1]
	v_lshrrev_b32_e32 v6, 16, v30
	v_and_or_b32 v4, v6, s18, v4
	v_and_b32_e32 v0, 0xffff, v0
	v_add_co_u32_e64 v25, s[0:1], s10, v25
	v_lshl_or_b32 v0, v4, 16, v0
	v_addc_co_u32_e64 v26, s[0:1], v26, v2, s[0:1]
	global_store_dword v[25:26], v0, off
	v_and_or_b32 v0, v28, s19, v27
	v_cmp_ne_u32_e64 s[0:1], 0, v0
	v_cndmask_b32_e64 v0, 0, 1, s[0:1]
	v_lshrrev_b32_e32 v4, 8, v28
	v_bfe_u32 v6, v28, 20, 11
	v_and_or_b32 v0, v4, s16, v0
	v_sub_u32_e32 v8, 0x3f1, v6
	v_or_b32_e32 v4, 0x1000, v0
	v_med3_i32 v8, v8, 0, 13
	v_lshrrev_b32_e32 v12, v8, v4
	v_lshlrev_b32_e32 v8, v8, v12
	v_cmp_ne_u32_e64 s[0:1], v8, v4
	v_cndmask_b32_e64 v4, 0, 1, s[0:1]
	v_or_b32_e32 v4, v12, v4
	v_mul_f16_sdwa v12, v104, v20 dst_sel:DWORD dst_unused:UNUSED_PAD src0_sel:WORD_1 src1_sel:DWORD
	v_fma_f16 v10, v104, v10, -v12
	v_cvt_f32_f16_e32 v10, v10
	v_add_u32_e32 v6, 0xfffffc10, v6
	v_lshl_or_b32 v8, v6, 12, v0
	v_cmp_gt_i32_e64 s[0:1], 1, v6
	v_cvt_f64_f32_e32 v[29:30], v10
	v_cndmask_b32_e64 v4, v8, v4, s[0:1]
	v_and_b32_e32 v8, 7, v4
	v_cmp_lt_i32_e64 s[0:1], 5, v8
	v_cmp_eq_u32_e64 s[2:3], 3, v8
	v_mul_f64 v[29:30], v[29:30], s[12:13]
	v_lshrrev_b32_e32 v4, 2, v4
	s_or_b64 s[0:1], s[2:3], s[0:1]
	v_addc_co_u32_e64 v4, s[0:1], 0, v4, s[0:1]
	v_cmp_gt_i32_e64 s[0:1], 31, v6
	v_cndmask_b32_e64 v4, v22, v4, s[0:1]
	v_cmp_ne_u32_e64 s[0:1], 0, v0
	v_cndmask_b32_e64 v0, 0, 1, s[0:1]
	v_lshl_or_b32 v0, v0, 9, v22
	v_cmp_eq_u32_e64 s[0:1], s17, v6
	v_cndmask_b32_e64 v0, v4, v0, s[0:1]
	v_lshrrev_b32_e32 v4, 16, v28
	v_and_or_b32 v0, v4, s18, v0
	v_and_or_b32 v4, v30, s19, v29
	v_cmp_ne_u32_e64 s[0:1], 0, v4
	v_cndmask_b32_e64 v4, 0, 1, s[0:1]
	v_lshrrev_b32_e32 v6, 8, v30
	v_bfe_u32 v8, v30, 20, 11
	v_and_or_b32 v4, v6, s16, v4
	v_sub_u32_e32 v10, 0x3f1, v8
	v_or_b32_e32 v6, 0x1000, v4
	v_med3_i32 v10, v10, 0, 13
	v_lshrrev_b32_e32 v12, v10, v6
	v_lshlrev_b32_e32 v10, v10, v12
	v_cmp_ne_u32_e64 s[0:1], v10, v6
	v_cndmask_b32_e64 v6, 0, 1, s[0:1]
	v_add_u32_e32 v8, 0xfffffc10, v8
	v_or_b32_e32 v6, v12, v6
	v_lshl_or_b32 v10, v8, 12, v4
	v_cmp_gt_i32_e64 s[0:1], 1, v8
	v_cndmask_b32_e64 v6, v10, v6, s[0:1]
	v_and_b32_e32 v10, 7, v6
	v_cmp_lt_i32_e64 s[0:1], 5, v10
	v_cmp_eq_u32_e64 s[2:3], 3, v10
	v_lshrrev_b32_e32 v10, 16, v1
	v_mul_f16_sdwa v12, v103, v10 dst_sel:DWORD dst_unused:UNUSED_PAD src0_sel:WORD_1 src1_sel:DWORD
	v_fma_f16 v12, v103, v1, v12
	v_cvt_f32_f16_e32 v12, v12
	v_lshrrev_b32_e32 v6, 2, v6
	s_or_b64 s[0:1], s[2:3], s[0:1]
	v_addc_co_u32_e64 v6, s[0:1], 0, v6, s[0:1]
	v_cvt_f64_f32_e32 v[27:28], v12
	v_cmp_gt_i32_e64 s[0:1], 31, v8
	v_cndmask_b32_e64 v6, v22, v6, s[0:1]
	v_cmp_ne_u32_e64 s[0:1], 0, v4
	v_mul_f64 v[27:28], v[27:28], s[12:13]
	v_cndmask_b32_e64 v4, 0, 1, s[0:1]
	v_lshl_or_b32 v4, v4, 9, v22
	v_cmp_eq_u32_e64 s[0:1], s17, v8
	v_cndmask_b32_e64 v4, v6, v4, s[0:1]
	v_lshrrev_b32_e32 v6, 16, v30
	v_and_or_b32 v4, v6, s18, v4
	v_and_b32_e32 v0, 0xffff, v0
	v_add_co_u32_e64 v25, s[0:1], s10, v25
	v_lshl_or_b32 v0, v4, 16, v0
	v_addc_co_u32_e64 v26, s[0:1], v26, v2, s[0:1]
	global_store_dword v[25:26], v0, off
	v_and_or_b32 v0, v28, s19, v27
	v_cmp_ne_u32_e64 s[0:1], 0, v0
	v_cndmask_b32_e64 v0, 0, 1, s[0:1]
	v_lshrrev_b32_e32 v4, 8, v28
	v_bfe_u32 v6, v28, 20, 11
	v_and_or_b32 v4, v4, s16, v0
	v_sub_u32_e32 v8, 0x3f1, v6
	v_or_b32_e32 v0, 0x1000, v4
	v_med3_i32 v8, v8, 0, 13
	v_lshrrev_b32_e32 v12, v8, v0
	v_lshlrev_b32_e32 v8, v8, v12
	v_mul_f16_sdwa v1, v103, v1 dst_sel:DWORD dst_unused:UNUSED_PAD src0_sel:WORD_1 src1_sel:DWORD
	v_cmp_ne_u32_e64 s[0:1], v8, v0
	v_fma_f16 v1, v103, v10, -v1
	v_cndmask_b32_e64 v0, 0, 1, s[0:1]
	v_add_u32_e32 v6, 0xfffffc10, v6
	v_cvt_f32_f16_e32 v1, v1
	v_or_b32_e32 v0, v12, v0
	v_lshl_or_b32 v8, v6, 12, v4
	v_cmp_gt_i32_e64 s[0:1], 1, v6
	v_cndmask_b32_e64 v0, v8, v0, s[0:1]
	v_and_b32_e32 v8, 7, v0
	v_cmp_lt_i32_e64 s[0:1], 5, v8
	v_cmp_eq_u32_e64 s[2:3], 3, v8
	v_lshrrev_b32_e32 v8, 2, v0
	v_cvt_f64_f32_e32 v[0:1], v1
	s_or_b64 s[0:1], s[2:3], s[0:1]
	v_addc_co_u32_e64 v8, s[0:1], 0, v8, s[0:1]
	v_mul_f64 v[0:1], v[0:1], s[12:13]
	v_cmp_gt_i32_e64 s[0:1], 31, v6
	v_cndmask_b32_e64 v8, v22, v8, s[0:1]
	v_cmp_ne_u32_e64 s[0:1], 0, v4
	v_cndmask_b32_e64 v4, 0, 1, s[0:1]
	v_lshl_or_b32 v4, v4, 9, v22
	v_cmp_eq_u32_e64 s[0:1], s17, v6
	v_cndmask_b32_e64 v4, v8, v4, s[0:1]
	v_and_or_b32 v0, v1, s19, v0
	v_lshrrev_b32_e32 v6, 16, v28
	v_cmp_ne_u32_e64 s[0:1], 0, v0
	v_and_or_b32 v4, v6, s18, v4
	v_cndmask_b32_e64 v0, 0, 1, s[0:1]
	v_lshrrev_b32_e32 v6, 8, v1
	v_bfe_u32 v8, v1, 20, 11
	v_and_or_b32 v0, v6, s16, v0
	v_sub_u32_e32 v10, 0x3f1, v8
	v_or_b32_e32 v6, 0x1000, v0
	v_med3_i32 v10, v10, 0, 13
	v_lshrrev_b32_e32 v12, v10, v6
	v_lshlrev_b32_e32 v10, v10, v12
	v_cmp_ne_u32_e64 s[0:1], v10, v6
	v_cndmask_b32_e64 v6, 0, 1, s[0:1]
	v_add_u32_e32 v8, 0xfffffc10, v8
	v_or_b32_e32 v6, v12, v6
	v_lshl_or_b32 v10, v8, 12, v0
	v_cmp_gt_i32_e64 s[0:1], 1, v8
	v_cndmask_b32_e64 v6, v10, v6, s[0:1]
	v_and_b32_e32 v10, 7, v6
	v_cmp_lt_i32_e64 s[0:1], 5, v10
	v_cmp_eq_u32_e64 s[2:3], 3, v10
	v_lshrrev_b32_e32 v6, 2, v6
	s_or_b64 s[0:1], s[2:3], s[0:1]
	v_addc_co_u32_e64 v6, s[0:1], 0, v6, s[0:1]
	v_cmp_gt_i32_e64 s[0:1], 31, v8
	v_cndmask_b32_e64 v6, v22, v6, s[0:1]
	v_cmp_ne_u32_e64 s[0:1], 0, v0
	v_cndmask_b32_e64 v0, 0, 1, s[0:1]
	v_lshl_or_b32 v0, v0, 9, v22
	v_cmp_eq_u32_e64 s[0:1], s17, v8
	v_cndmask_b32_e64 v0, v6, v0, s[0:1]
	v_lshrrev_b32_e32 v1, 16, v1
	v_lshrrev_b32_e32 v8, 16, v3
	v_and_or_b32 v6, v1, s18, v0
	v_mul_f16_sdwa v0, v102, v8 dst_sel:DWORD dst_unused:UNUSED_PAD src0_sel:WORD_1 src1_sel:DWORD
	v_fma_f16 v0, v102, v3, v0
	v_cvt_f32_f16_e32 v0, v0
	s_mul_hi_u32 s1, s8, 0xfffffb55
	s_mul_i32 s0, s9, 0xfffffb55
	s_sub_i32 s1, s1, s8
	v_cvt_f64_f32_e32 v[0:1], v0
	s_add_i32 s1, s1, s0
	s_mul_i32 s0, s8, 0xfffffb55
	v_and_b32_e32 v4, 0xffff, v4
	v_mul_f64 v[0:1], v[0:1], s[12:13]
	s_lshl_b64 s[4:5], s[0:1], 2
	v_lshl_or_b32 v4, v6, 16, v4
	v_mov_b32_e32 v6, s5
	v_add_co_u32_e64 v25, s[0:1], s4, v25
	v_addc_co_u32_e64 v26, s[0:1], v26, v6, s[0:1]
	v_and_or_b32 v0, v1, s19, v0
	v_cmp_ne_u32_e64 s[0:1], 0, v0
	global_store_dword v[25:26], v4, off
	v_cndmask_b32_e64 v0, 0, 1, s[0:1]
	v_lshrrev_b32_e32 v4, 8, v1
	v_bfe_u32 v6, v1, 20, 11
	v_and_or_b32 v0, v4, s16, v0
	v_sub_u32_e32 v10, 0x3f1, v6
	v_or_b32_e32 v4, 0x1000, v0
	v_med3_i32 v10, v10, 0, 13
	v_lshrrev_b32_e32 v12, v10, v4
	v_mul_f16_sdwa v3, v102, v3 dst_sel:DWORD dst_unused:UNUSED_PAD src0_sel:WORD_1 src1_sel:DWORD
	v_lshlrev_b32_e32 v10, v10, v12
	v_fma_f16 v3, v102, v8, -v3
	v_cmp_ne_u32_e64 s[0:1], v10, v4
	v_cvt_f32_f16_e32 v3, v3
	v_cndmask_b32_e64 v4, 0, 1, s[0:1]
	v_add_u32_e32 v6, 0xfffffc10, v6
	v_or_b32_e32 v4, v12, v4
	v_lshl_or_b32 v10, v6, 12, v0
	v_cmp_gt_i32_e64 s[0:1], 1, v6
	v_cndmask_b32_e64 v4, v10, v4, s[0:1]
	v_and_b32_e32 v10, 7, v4
	v_lshrrev_b32_e32 v8, 2, v4
	v_cvt_f64_f32_e32 v[3:4], v3
	v_cmp_lt_i32_e64 s[0:1], 5, v10
	v_cmp_eq_u32_e64 s[2:3], 3, v10
	s_or_b64 s[0:1], s[2:3], s[0:1]
	v_mul_f64 v[3:4], v[3:4], s[12:13]
	v_addc_co_u32_e64 v8, s[0:1], 0, v8, s[0:1]
	v_cmp_gt_i32_e64 s[0:1], 31, v6
	v_cndmask_b32_e64 v8, v22, v8, s[0:1]
	v_cmp_ne_u32_e64 s[0:1], 0, v0
	v_cndmask_b32_e64 v0, 0, 1, s[0:1]
	v_lshl_or_b32 v0, v0, 9, v22
	v_cmp_eq_u32_e64 s[0:1], s17, v6
	v_cndmask_b32_e64 v0, v8, v0, s[0:1]
	v_lshrrev_b32_e32 v1, 16, v1
	v_and_or_b32 v6, v1, s18, v0
	v_and_or_b32 v0, v4, s19, v3
	v_cmp_ne_u32_e64 s[0:1], 0, v0
	v_cndmask_b32_e64 v0, 0, 1, s[0:1]
	v_lshrrev_b32_e32 v1, 8, v4
	v_bfe_u32 v3, v4, 20, 11
	v_and_or_b32 v0, v1, s16, v0
	v_sub_u32_e32 v8, 0x3f1, v3
	v_or_b32_e32 v1, 0x1000, v0
	v_med3_i32 v8, v8, 0, 13
	v_lshrrev_b32_e32 v10, v8, v1
	v_lshlrev_b32_e32 v8, v8, v10
	v_cmp_ne_u32_e64 s[0:1], v8, v1
	v_cndmask_b32_e64 v1, 0, 1, s[0:1]
	v_add_u32_e32 v3, 0xfffffc10, v3
	v_or_b32_e32 v1, v10, v1
	v_lshl_or_b32 v8, v3, 12, v0
	v_cmp_gt_i32_e64 s[0:1], 1, v3
	v_cndmask_b32_e64 v1, v8, v1, s[0:1]
	v_and_b32_e32 v8, 7, v1
	v_cmp_lt_i32_e64 s[0:1], 5, v8
	v_cmp_eq_u32_e64 s[2:3], 3, v8
	v_lshrrev_b32_e32 v1, 2, v1
	s_or_b64 s[0:1], s[2:3], s[0:1]
	v_addc_co_u32_e64 v1, s[0:1], 0, v1, s[0:1]
	v_cmp_gt_i32_e64 s[0:1], 31, v3
	v_lshrrev_b32_e32 v10, 16, v5
	v_cndmask_b32_e64 v8, v22, v1, s[0:1]
	v_mul_f16_sdwa v1, v101, v10 dst_sel:DWORD dst_unused:UNUSED_PAD src0_sel:WORD_1 src1_sel:DWORD
	v_fma_f16 v1, v101, v5, v1
	v_cvt_f32_f16_e32 v1, v1
	v_cmp_ne_u32_e64 s[0:1], 0, v0
	v_cndmask_b32_e64 v0, 0, 1, s[0:1]
	v_lshl_or_b32 v12, v0, 9, v22
	v_cvt_f64_f32_e32 v[0:1], v1
	v_cmp_eq_u32_e64 s[0:1], s17, v3
	v_cndmask_b32_e64 v3, v8, v12, s[0:1]
	v_lshrrev_b32_e32 v4, 16, v4
	v_mul_f64 v[0:1], v[0:1], s[12:13]
	v_and_or_b32 v3, v4, s18, v3
	v_and_b32_e32 v4, 0xffff, v6
	v_lshl_or_b32 v6, v3, 16, v4
	v_add_co_u32_e64 v3, s[0:1], s10, v25
	v_addc_co_u32_e64 v4, s[0:1], v26, v2, s[0:1]
	v_and_or_b32 v0, v1, s19, v0
	v_cmp_ne_u32_e64 s[0:1], 0, v0
	global_store_dword v[3:4], v6, off
	v_cndmask_b32_e64 v0, 0, 1, s[0:1]
	v_lshrrev_b32_e32 v6, 8, v1
	v_bfe_u32 v8, v1, 20, 11
	v_and_or_b32 v0, v6, s16, v0
	v_sub_u32_e32 v12, 0x3f1, v8
	v_or_b32_e32 v6, 0x1000, v0
	v_med3_i32 v12, v12, 0, 13
	v_lshrrev_b32_e32 v14, v12, v6
	v_mul_f16_sdwa v5, v101, v5 dst_sel:DWORD dst_unused:UNUSED_PAD src0_sel:WORD_1 src1_sel:DWORD
	v_lshlrev_b32_e32 v12, v12, v14
	v_fma_f16 v5, v101, v10, -v5
	v_cmp_ne_u32_e64 s[0:1], v12, v6
	v_cvt_f32_f16_e32 v5, v5
	v_cndmask_b32_e64 v6, 0, 1, s[0:1]
	v_add_u32_e32 v8, 0xfffffc10, v8
	v_or_b32_e32 v6, v14, v6
	v_lshl_or_b32 v12, v8, 12, v0
	v_cmp_gt_i32_e64 s[0:1], 1, v8
	v_cndmask_b32_e64 v6, v12, v6, s[0:1]
	v_and_b32_e32 v12, 7, v6
	v_lshrrev_b32_e32 v10, 2, v6
	v_cvt_f64_f32_e32 v[5:6], v5
	v_cmp_lt_i32_e64 s[0:1], 5, v12
	v_cmp_eq_u32_e64 s[2:3], 3, v12
	s_or_b64 s[0:1], s[2:3], s[0:1]
	v_mul_f64 v[5:6], v[5:6], s[12:13]
	v_addc_co_u32_e64 v10, s[0:1], 0, v10, s[0:1]
	v_cmp_gt_i32_e64 s[0:1], 31, v8
	v_cndmask_b32_e64 v10, v22, v10, s[0:1]
	v_cmp_ne_u32_e64 s[0:1], 0, v0
	v_cndmask_b32_e64 v0, 0, 1, s[0:1]
	v_lshl_or_b32 v0, v0, 9, v22
	v_cmp_eq_u32_e64 s[0:1], s17, v8
	v_cndmask_b32_e64 v0, v10, v0, s[0:1]
	v_lshrrev_b32_e32 v1, 16, v1
	v_and_or_b32 v8, v1, s18, v0
	v_and_or_b32 v0, v6, s19, v5
	v_cmp_ne_u32_e64 s[0:1], 0, v0
	v_cndmask_b32_e64 v0, 0, 1, s[0:1]
	v_lshrrev_b32_e32 v1, 8, v6
	v_bfe_u32 v5, v6, 20, 11
	v_and_or_b32 v0, v1, s16, v0
	v_sub_u32_e32 v10, 0x3f1, v5
	v_or_b32_e32 v1, 0x1000, v0
	v_med3_i32 v10, v10, 0, 13
	v_lshrrev_b32_e32 v12, v10, v1
	v_lshlrev_b32_e32 v10, v10, v12
	v_cmp_ne_u32_e64 s[0:1], v10, v1
	v_cndmask_b32_e64 v1, 0, 1, s[0:1]
	v_add_u32_e32 v5, 0xfffffc10, v5
	v_or_b32_e32 v1, v12, v1
	v_lshl_or_b32 v10, v5, 12, v0
	v_cmp_gt_i32_e64 s[0:1], 1, v5
	v_cndmask_b32_e64 v1, v10, v1, s[0:1]
	v_and_b32_e32 v10, 7, v1
	v_cmp_lt_i32_e64 s[0:1], 5, v10
	v_cmp_eq_u32_e64 s[2:3], 3, v10
	v_lshrrev_b32_e32 v1, 2, v1
	s_or_b64 s[0:1], s[2:3], s[0:1]
	v_addc_co_u32_e64 v1, s[0:1], 0, v1, s[0:1]
	v_cmp_gt_i32_e64 s[0:1], 31, v5
	v_lshrrev_b32_e32 v12, 16, v7
	v_cndmask_b32_e64 v10, v22, v1, s[0:1]
	v_mul_f16_sdwa v1, v100, v12 dst_sel:DWORD dst_unused:UNUSED_PAD src0_sel:WORD_1 src1_sel:DWORD
	v_fma_f16 v1, v100, v7, v1
	v_cvt_f32_f16_e32 v1, v1
	v_cmp_ne_u32_e64 s[0:1], 0, v0
	v_cndmask_b32_e64 v0, 0, 1, s[0:1]
	v_lshl_or_b32 v14, v0, 9, v22
	v_cvt_f64_f32_e32 v[0:1], v1
	v_cmp_eq_u32_e64 s[0:1], s17, v5
	v_cndmask_b32_e64 v5, v10, v14, s[0:1]
	v_lshrrev_b32_e32 v6, 16, v6
	v_mul_f64 v[0:1], v[0:1], s[12:13]
	v_add_co_u32_e64 v3, s[0:1], s10, v3
	v_and_or_b32 v5, v6, s18, v5
	v_and_b32_e32 v6, 0xffff, v8
	v_addc_co_u32_e64 v4, s[0:1], v4, v2, s[0:1]
	v_lshl_or_b32 v5, v5, 16, v6
	v_and_or_b32 v0, v1, s19, v0
	v_cmp_ne_u32_e64 s[0:1], 0, v0
	global_store_dword v[3:4], v5, off
	v_cndmask_b32_e64 v0, 0, 1, s[0:1]
	v_lshrrev_b32_e32 v5, 8, v1
	v_bfe_u32 v6, v1, 20, 11
	v_and_or_b32 v0, v5, s16, v0
	v_sub_u32_e32 v8, 0x3f1, v6
	v_or_b32_e32 v5, 0x1000, v0
	v_med3_i32 v8, v8, 0, 13
	v_lshrrev_b32_e32 v10, v8, v5
	v_lshlrev_b32_e32 v8, v8, v10
	v_mul_f16_sdwa v7, v100, v7 dst_sel:DWORD dst_unused:UNUSED_PAD src0_sel:WORD_1 src1_sel:DWORD
	v_cmp_ne_u32_e64 s[0:1], v8, v5
	v_fma_f16 v7, v100, v12, -v7
	v_cndmask_b32_e64 v5, 0, 1, s[0:1]
	v_add_u32_e32 v8, 0xfffffc10, v6
	v_cvt_f32_f16_e32 v7, v7
	v_or_b32_e32 v5, v10, v5
	v_lshl_or_b32 v6, v8, 12, v0
	v_cmp_gt_i32_e64 s[0:1], 1, v8
	v_cndmask_b32_e64 v5, v6, v5, s[0:1]
	v_and_b32_e32 v6, 7, v5
	v_cmp_lt_i32_e64 s[0:1], 5, v6
	v_cmp_eq_u32_e64 s[2:3], 3, v6
	v_lshrrev_b32_e32 v10, 2, v5
	v_cvt_f64_f32_e32 v[5:6], v7
	s_or_b64 s[0:1], s[2:3], s[0:1]
	v_addc_co_u32_e64 v7, s[0:1], 0, v10, s[0:1]
	v_mul_f64 v[5:6], v[5:6], s[12:13]
	v_cmp_gt_i32_e64 s[0:1], 31, v8
	v_cndmask_b32_e64 v7, v22, v7, s[0:1]
	v_cmp_ne_u32_e64 s[0:1], 0, v0
	v_cndmask_b32_e64 v0, 0, 1, s[0:1]
	v_lshl_or_b32 v0, v0, 9, v22
	v_cmp_eq_u32_e64 s[0:1], s17, v8
	v_cndmask_b32_e64 v0, v7, v0, s[0:1]
	v_lshrrev_b32_e32 v1, 16, v1
	v_and_or_b32 v7, v1, s18, v0
	v_and_or_b32 v0, v6, s19, v5
	v_cmp_ne_u32_e64 s[0:1], 0, v0
	v_cndmask_b32_e64 v0, 0, 1, s[0:1]
	v_lshrrev_b32_e32 v1, 8, v6
	v_bfe_u32 v5, v6, 20, 11
	v_and_or_b32 v0, v1, s16, v0
	v_sub_u32_e32 v8, 0x3f1, v5
	v_or_b32_e32 v1, 0x1000, v0
	v_med3_i32 v8, v8, 0, 13
	v_lshrrev_b32_e32 v10, v8, v1
	v_lshlrev_b32_e32 v8, v8, v10
	v_cmp_ne_u32_e64 s[0:1], v8, v1
	v_cndmask_b32_e64 v1, 0, 1, s[0:1]
	v_add_u32_e32 v5, 0xfffffc10, v5
	v_or_b32_e32 v1, v10, v1
	v_lshl_or_b32 v8, v5, 12, v0
	v_cmp_gt_i32_e64 s[0:1], 1, v5
	v_cndmask_b32_e64 v1, v8, v1, s[0:1]
	v_and_b32_e32 v8, 7, v1
	v_cmp_lt_i32_e64 s[0:1], 5, v8
	v_cmp_eq_u32_e64 s[2:3], 3, v8
	v_lshrrev_b32_e32 v1, 2, v1
	s_or_b64 s[0:1], s[2:3], s[0:1]
	v_addc_co_u32_e64 v1, s[0:1], 0, v1, s[0:1]
	v_cmp_gt_i32_e64 s[0:1], 31, v5
	v_lshrrev_b32_e32 v10, 16, v9
	v_cndmask_b32_e64 v8, v22, v1, s[0:1]
	v_mul_f16_sdwa v1, v99, v10 dst_sel:DWORD dst_unused:UNUSED_PAD src0_sel:WORD_1 src1_sel:DWORD
	v_fma_f16 v1, v99, v9, v1
	v_cvt_f32_f16_e32 v1, v1
	v_cmp_ne_u32_e64 s[0:1], 0, v0
	v_cndmask_b32_e64 v0, 0, 1, s[0:1]
	v_lshl_or_b32 v12, v0, 9, v22
	v_cvt_f64_f32_e32 v[0:1], v1
	v_cmp_eq_u32_e64 s[0:1], s17, v5
	v_cndmask_b32_e64 v5, v8, v12, s[0:1]
	v_lshrrev_b32_e32 v6, 16, v6
	v_mul_f64 v[0:1], v[0:1], s[12:13]
	v_add_co_u32_e64 v3, s[0:1], s10, v3
	v_and_or_b32 v5, v6, s18, v5
	v_and_b32_e32 v6, 0xffff, v7
	v_addc_co_u32_e64 v4, s[0:1], v4, v2, s[0:1]
	v_lshl_or_b32 v5, v5, 16, v6
	v_and_or_b32 v0, v1, s19, v0
	v_cmp_ne_u32_e64 s[0:1], 0, v0
	global_store_dword v[3:4], v5, off
	v_cndmask_b32_e64 v0, 0, 1, s[0:1]
	v_lshrrev_b32_e32 v5, 8, v1
	v_bfe_u32 v6, v1, 20, 11
	v_and_or_b32 v0, v5, s16, v0
	v_sub_u32_e32 v7, 0x3f1, v6
	v_or_b32_e32 v5, 0x1000, v0
	v_med3_i32 v7, v7, 0, 13
	v_lshrrev_b32_e32 v8, v7, v5
	v_lshlrev_b32_e32 v7, v7, v8
	v_cmp_ne_u32_e64 s[0:1], v7, v5
	v_cndmask_b32_e64 v5, 0, 1, s[0:1]
	v_or_b32_e32 v5, v8, v5
	v_mul_f16_sdwa v8, v99, v9 dst_sel:DWORD dst_unused:UNUSED_PAD src0_sel:WORD_1 src1_sel:DWORD
	v_fma_f16 v8, v99, v10, -v8
	v_add_u32_e32 v7, 0xfffffc10, v6
	v_cvt_f32_f16_e32 v8, v8
	v_lshl_or_b32 v6, v7, 12, v0
	v_cmp_gt_i32_e64 s[0:1], 1, v7
	v_cndmask_b32_e64 v5, v6, v5, s[0:1]
	v_and_b32_e32 v6, 7, v5
	v_cmp_lt_i32_e64 s[0:1], 5, v6
	v_cmp_eq_u32_e64 s[2:3], 3, v6
	v_lshrrev_b32_e32 v9, 2, v5
	v_cvt_f64_f32_e32 v[5:6], v8
	s_or_b64 s[0:1], s[2:3], s[0:1]
	v_addc_co_u32_e64 v8, s[0:1], 0, v9, s[0:1]
	v_mul_f64 v[5:6], v[5:6], s[12:13]
	v_cmp_gt_i32_e64 s[0:1], 31, v7
	v_cndmask_b32_e64 v8, v22, v8, s[0:1]
	v_cmp_ne_u32_e64 s[0:1], 0, v0
	v_cndmask_b32_e64 v0, 0, 1, s[0:1]
	v_lshl_or_b32 v0, v0, 9, v22
	v_cmp_eq_u32_e64 s[0:1], s17, v7
	v_cndmask_b32_e64 v0, v8, v0, s[0:1]
	v_lshrrev_b32_e32 v1, 16, v1
	v_and_or_b32 v7, v1, s18, v0
	v_and_or_b32 v0, v6, s19, v5
	v_cmp_ne_u32_e64 s[0:1], 0, v0
	v_cndmask_b32_e64 v0, 0, 1, s[0:1]
	v_lshrrev_b32_e32 v1, 8, v6
	v_bfe_u32 v5, v6, 20, 11
	v_and_or_b32 v0, v1, s16, v0
	v_sub_u32_e32 v8, 0x3f1, v5
	v_or_b32_e32 v1, 0x1000, v0
	v_med3_i32 v8, v8, 0, 13
	v_lshrrev_b32_e32 v9, v8, v1
	v_lshlrev_b32_e32 v8, v8, v9
	v_cmp_ne_u32_e64 s[0:1], v8, v1
	v_cndmask_b32_e64 v1, 0, 1, s[0:1]
	v_add_u32_e32 v5, 0xfffffc10, v5
	v_or_b32_e32 v1, v9, v1
	v_lshl_or_b32 v8, v5, 12, v0
	v_cmp_gt_i32_e64 s[0:1], 1, v5
	v_cndmask_b32_e64 v1, v8, v1, s[0:1]
	v_and_b32_e32 v8, 7, v1
	v_cmp_lt_i32_e64 s[0:1], 5, v8
	v_cmp_eq_u32_e64 s[2:3], 3, v8
	v_lshrrev_b32_e32 v1, 2, v1
	s_or_b64 s[0:1], s[2:3], s[0:1]
	v_addc_co_u32_e64 v1, s[0:1], 0, v1, s[0:1]
	v_cmp_gt_i32_e64 s[0:1], 31, v5
	v_lshrrev_b32_e32 v9, 16, v11
	v_cndmask_b32_e64 v8, v22, v1, s[0:1]
	v_mul_f16_sdwa v1, v98, v9 dst_sel:DWORD dst_unused:UNUSED_PAD src0_sel:WORD_1 src1_sel:DWORD
	v_fma_f16 v1, v98, v11, v1
	v_cvt_f32_f16_e32 v1, v1
	v_cmp_ne_u32_e64 s[0:1], 0, v0
	v_cndmask_b32_e64 v0, 0, 1, s[0:1]
	v_lshl_or_b32 v10, v0, 9, v22
	v_cvt_f64_f32_e32 v[0:1], v1
	v_cmp_eq_u32_e64 s[0:1], s17, v5
	v_cndmask_b32_e64 v5, v8, v10, s[0:1]
	v_lshrrev_b32_e32 v6, 16, v6
	v_mul_f64 v[0:1], v[0:1], s[12:13]
	v_add_co_u32_e64 v3, s[0:1], s10, v3
	v_and_or_b32 v5, v6, s18, v5
	v_and_b32_e32 v6, 0xffff, v7
	v_addc_co_u32_e64 v4, s[0:1], v4, v2, s[0:1]
	v_lshl_or_b32 v5, v5, 16, v6
	v_and_or_b32 v0, v1, s19, v0
	v_cmp_ne_u32_e64 s[0:1], 0, v0
	global_store_dword v[3:4], v5, off
	v_cndmask_b32_e64 v0, 0, 1, s[0:1]
	v_lshrrev_b32_e32 v5, 8, v1
	v_bfe_u32 v6, v1, 20, 11
	v_and_or_b32 v0, v5, s16, v0
	v_sub_u32_e32 v7, 0x3f1, v6
	v_or_b32_e32 v5, 0x1000, v0
	v_med3_i32 v7, v7, 0, 13
	v_lshrrev_b32_e32 v8, v7, v5
	v_lshlrev_b32_e32 v7, v7, v8
	v_cmp_ne_u32_e64 s[0:1], v7, v5
	v_cndmask_b32_e64 v5, 0, 1, s[0:1]
	v_or_b32_e32 v5, v8, v5
	v_mul_f16_sdwa v8, v98, v11 dst_sel:DWORD dst_unused:UNUSED_PAD src0_sel:WORD_1 src1_sel:DWORD
	v_fma_f16 v8, v98, v9, -v8
	v_add_u32_e32 v7, 0xfffffc10, v6
	v_cvt_f32_f16_e32 v8, v8
	v_lshl_or_b32 v6, v7, 12, v0
	v_cmp_gt_i32_e64 s[0:1], 1, v7
	v_cndmask_b32_e64 v5, v6, v5, s[0:1]
	v_and_b32_e32 v6, 7, v5
	v_cmp_lt_i32_e64 s[0:1], 5, v6
	v_cmp_eq_u32_e64 s[2:3], 3, v6
	v_lshrrev_b32_e32 v9, 2, v5
	v_cvt_f64_f32_e32 v[5:6], v8
	s_or_b64 s[0:1], s[2:3], s[0:1]
	v_addc_co_u32_e64 v8, s[0:1], 0, v9, s[0:1]
	v_mul_f64 v[5:6], v[5:6], s[12:13]
	v_cmp_gt_i32_e64 s[0:1], 31, v7
	v_cndmask_b32_e64 v8, v22, v8, s[0:1]
	v_cmp_ne_u32_e64 s[0:1], 0, v0
	v_cndmask_b32_e64 v0, 0, 1, s[0:1]
	v_lshl_or_b32 v0, v0, 9, v22
	v_cmp_eq_u32_e64 s[0:1], s17, v7
	v_cndmask_b32_e64 v0, v8, v0, s[0:1]
	v_lshrrev_b32_e32 v1, 16, v1
	v_and_or_b32 v7, v1, s18, v0
	v_and_or_b32 v0, v6, s19, v5
	v_cmp_ne_u32_e64 s[0:1], 0, v0
	v_cndmask_b32_e64 v0, 0, 1, s[0:1]
	v_lshrrev_b32_e32 v1, 8, v6
	v_bfe_u32 v5, v6, 20, 11
	v_and_or_b32 v0, v1, s16, v0
	v_sub_u32_e32 v8, 0x3f1, v5
	v_or_b32_e32 v1, 0x1000, v0
	v_med3_i32 v8, v8, 0, 13
	v_lshrrev_b32_e32 v9, v8, v1
	v_lshlrev_b32_e32 v8, v8, v9
	v_cmp_ne_u32_e64 s[0:1], v8, v1
	v_cndmask_b32_e64 v1, 0, 1, s[0:1]
	v_add_u32_e32 v5, 0xfffffc10, v5
	v_or_b32_e32 v1, v9, v1
	v_lshl_or_b32 v8, v5, 12, v0
	v_cmp_gt_i32_e64 s[0:1], 1, v5
	v_cndmask_b32_e64 v1, v8, v1, s[0:1]
	v_and_b32_e32 v8, 7, v1
	v_cmp_lt_i32_e64 s[0:1], 5, v8
	v_cmp_eq_u32_e64 s[2:3], 3, v8
	v_lshrrev_b32_e32 v1, 2, v1
	s_or_b64 s[0:1], s[2:3], s[0:1]
	v_addc_co_u32_e64 v1, s[0:1], 0, v1, s[0:1]
	v_cmp_gt_i32_e64 s[0:1], 31, v5
	v_lshrrev_b32_e32 v9, 16, v13
	v_cndmask_b32_e64 v8, v22, v1, s[0:1]
	v_mul_f16_sdwa v1, v97, v9 dst_sel:DWORD dst_unused:UNUSED_PAD src0_sel:WORD_1 src1_sel:DWORD
	v_fma_f16 v1, v97, v13, v1
	v_cvt_f32_f16_e32 v1, v1
	v_cmp_ne_u32_e64 s[0:1], 0, v0
	v_cndmask_b32_e64 v0, 0, 1, s[0:1]
	v_lshl_or_b32 v10, v0, 9, v22
	v_cvt_f64_f32_e32 v[0:1], v1
	v_cmp_eq_u32_e64 s[0:1], s17, v5
	v_cndmask_b32_e64 v5, v8, v10, s[0:1]
	v_lshrrev_b32_e32 v6, 16, v6
	v_mul_f64 v[0:1], v[0:1], s[12:13]
	v_add_co_u32_e64 v3, s[0:1], s10, v3
	v_and_or_b32 v5, v6, s18, v5
	v_and_b32_e32 v6, 0xffff, v7
	v_addc_co_u32_e64 v4, s[0:1], v4, v2, s[0:1]
	v_lshl_or_b32 v5, v5, 16, v6
	v_and_or_b32 v0, v1, s19, v0
	v_cmp_ne_u32_e64 s[0:1], 0, v0
	global_store_dword v[3:4], v5, off
	v_cndmask_b32_e64 v0, 0, 1, s[0:1]
	v_lshrrev_b32_e32 v5, 8, v1
	v_bfe_u32 v6, v1, 20, 11
	v_and_or_b32 v0, v5, s16, v0
	v_sub_u32_e32 v7, 0x3f1, v6
	v_or_b32_e32 v5, 0x1000, v0
	v_med3_i32 v7, v7, 0, 13
	v_lshrrev_b32_e32 v8, v7, v5
	v_lshlrev_b32_e32 v7, v7, v8
	v_cmp_ne_u32_e64 s[0:1], v7, v5
	v_cndmask_b32_e64 v5, 0, 1, s[0:1]
	v_or_b32_e32 v5, v8, v5
	v_mul_f16_sdwa v8, v97, v13 dst_sel:DWORD dst_unused:UNUSED_PAD src0_sel:WORD_1 src1_sel:DWORD
	v_fma_f16 v8, v97, v9, -v8
	v_add_u32_e32 v7, 0xfffffc10, v6
	v_cvt_f32_f16_e32 v8, v8
	v_lshl_or_b32 v6, v7, 12, v0
	v_cmp_gt_i32_e64 s[0:1], 1, v7
	v_cndmask_b32_e64 v5, v6, v5, s[0:1]
	v_and_b32_e32 v6, 7, v5
	v_cmp_lt_i32_e64 s[0:1], 5, v6
	v_cmp_eq_u32_e64 s[2:3], 3, v6
	v_lshrrev_b32_e32 v9, 2, v5
	v_cvt_f64_f32_e32 v[5:6], v8
	s_or_b64 s[0:1], s[2:3], s[0:1]
	v_addc_co_u32_e64 v8, s[0:1], 0, v9, s[0:1]
	v_mul_f64 v[5:6], v[5:6], s[12:13]
	v_cmp_gt_i32_e64 s[0:1], 31, v7
	v_cndmask_b32_e64 v8, v22, v8, s[0:1]
	v_cmp_ne_u32_e64 s[0:1], 0, v0
	v_cndmask_b32_e64 v0, 0, 1, s[0:1]
	v_lshl_or_b32 v0, v0, 9, v22
	v_cmp_eq_u32_e64 s[0:1], s17, v7
	v_cndmask_b32_e64 v0, v8, v0, s[0:1]
	v_lshrrev_b32_e32 v1, 16, v1
	v_and_or_b32 v7, v1, s18, v0
	v_and_or_b32 v0, v6, s19, v5
	v_cmp_ne_u32_e64 s[0:1], 0, v0
	v_cndmask_b32_e64 v0, 0, 1, s[0:1]
	v_lshrrev_b32_e32 v1, 8, v6
	v_bfe_u32 v5, v6, 20, 11
	v_and_or_b32 v0, v1, s16, v0
	v_sub_u32_e32 v8, 0x3f1, v5
	v_or_b32_e32 v1, 0x1000, v0
	v_med3_i32 v8, v8, 0, 13
	v_lshrrev_b32_e32 v9, v8, v1
	v_lshlrev_b32_e32 v8, v8, v9
	v_cmp_ne_u32_e64 s[0:1], v8, v1
	v_cndmask_b32_e64 v1, 0, 1, s[0:1]
	v_add_u32_e32 v5, 0xfffffc10, v5
	v_or_b32_e32 v1, v9, v1
	v_lshl_or_b32 v8, v5, 12, v0
	v_cmp_gt_i32_e64 s[0:1], 1, v5
	v_cndmask_b32_e64 v1, v8, v1, s[0:1]
	v_and_b32_e32 v8, 7, v1
	v_cmp_lt_i32_e64 s[0:1], 5, v8
	v_cmp_eq_u32_e64 s[2:3], 3, v8
	v_lshrrev_b32_e32 v1, 2, v1
	s_or_b64 s[0:1], s[2:3], s[0:1]
	v_addc_co_u32_e64 v1, s[0:1], 0, v1, s[0:1]
	v_cmp_gt_i32_e64 s[0:1], 31, v5
	v_lshrrev_b32_e32 v9, 16, v15
	v_cndmask_b32_e64 v8, v22, v1, s[0:1]
	v_mul_f16_sdwa v1, v95, v9 dst_sel:DWORD dst_unused:UNUSED_PAD src0_sel:WORD_1 src1_sel:DWORD
	v_fma_f16 v1, v95, v15, v1
	v_cvt_f32_f16_e32 v1, v1
	v_cmp_ne_u32_e64 s[0:1], 0, v0
	v_cndmask_b32_e64 v0, 0, 1, s[0:1]
	v_lshl_or_b32 v10, v0, 9, v22
	v_cvt_f64_f32_e32 v[0:1], v1
	v_cmp_eq_u32_e64 s[0:1], s17, v5
	v_cndmask_b32_e64 v5, v8, v10, s[0:1]
	v_lshrrev_b32_e32 v6, 16, v6
	v_mul_f64 v[0:1], v[0:1], s[12:13]
	v_add_co_u32_e64 v3, s[0:1], s10, v3
	v_and_or_b32 v5, v6, s18, v5
	v_and_b32_e32 v6, 0xffff, v7
	v_addc_co_u32_e64 v4, s[0:1], v4, v2, s[0:1]
	v_lshl_or_b32 v5, v5, 16, v6
	v_and_or_b32 v0, v1, s19, v0
	v_cmp_ne_u32_e64 s[0:1], 0, v0
	global_store_dword v[3:4], v5, off
	v_cndmask_b32_e64 v0, 0, 1, s[0:1]
	v_lshrrev_b32_e32 v5, 8, v1
	v_bfe_u32 v6, v1, 20, 11
	v_and_or_b32 v0, v5, s16, v0
	v_sub_u32_e32 v7, 0x3f1, v6
	v_or_b32_e32 v5, 0x1000, v0
	v_med3_i32 v7, v7, 0, 13
	v_lshrrev_b32_e32 v8, v7, v5
	v_lshlrev_b32_e32 v7, v7, v8
	v_cmp_ne_u32_e64 s[0:1], v7, v5
	v_cndmask_b32_e64 v5, 0, 1, s[0:1]
	v_or_b32_e32 v5, v8, v5
	v_mul_f16_sdwa v8, v95, v15 dst_sel:DWORD dst_unused:UNUSED_PAD src0_sel:WORD_1 src1_sel:DWORD
	v_fma_f16 v8, v95, v9, -v8
	v_add_u32_e32 v7, 0xfffffc10, v6
	v_cvt_f32_f16_e32 v8, v8
	v_lshl_or_b32 v6, v7, 12, v0
	v_cmp_gt_i32_e64 s[0:1], 1, v7
	v_cndmask_b32_e64 v5, v6, v5, s[0:1]
	v_and_b32_e32 v6, 7, v5
	v_cmp_lt_i32_e64 s[0:1], 5, v6
	v_cmp_eq_u32_e64 s[2:3], 3, v6
	v_lshrrev_b32_e32 v9, 2, v5
	v_cvt_f64_f32_e32 v[5:6], v8
	s_or_b64 s[0:1], s[2:3], s[0:1]
	v_addc_co_u32_e64 v8, s[0:1], 0, v9, s[0:1]
	v_mul_f64 v[5:6], v[5:6], s[12:13]
	v_cmp_gt_i32_e64 s[0:1], 31, v7
	v_cndmask_b32_e64 v8, v22, v8, s[0:1]
	v_cmp_ne_u32_e64 s[0:1], 0, v0
	v_cndmask_b32_e64 v0, 0, 1, s[0:1]
	v_lshl_or_b32 v0, v0, 9, v22
	v_cmp_eq_u32_e64 s[0:1], s17, v7
	v_cndmask_b32_e64 v0, v8, v0, s[0:1]
	v_lshrrev_b32_e32 v1, 16, v1
	v_and_or_b32 v7, v1, s18, v0
	v_and_or_b32 v0, v6, s19, v5
	v_cmp_ne_u32_e64 s[0:1], 0, v0
	v_cndmask_b32_e64 v0, 0, 1, s[0:1]
	v_lshrrev_b32_e32 v1, 8, v6
	v_bfe_u32 v5, v6, 20, 11
	v_and_or_b32 v0, v1, s16, v0
	v_sub_u32_e32 v8, 0x3f1, v5
	v_or_b32_e32 v1, 0x1000, v0
	v_med3_i32 v8, v8, 0, 13
	v_lshrrev_b32_e32 v9, v8, v1
	v_lshlrev_b32_e32 v8, v8, v9
	v_cmp_ne_u32_e64 s[0:1], v8, v1
	v_cndmask_b32_e64 v1, 0, 1, s[0:1]
	v_add_u32_e32 v5, 0xfffffc10, v5
	v_or_b32_e32 v1, v9, v1
	v_lshl_or_b32 v8, v5, 12, v0
	v_cmp_gt_i32_e64 s[0:1], 1, v5
	v_cndmask_b32_e64 v1, v8, v1, s[0:1]
	v_and_b32_e32 v8, 7, v1
	v_cmp_lt_i32_e64 s[0:1], 5, v8
	v_cmp_eq_u32_e64 s[2:3], 3, v8
	v_lshrrev_b32_e32 v1, 2, v1
	s_or_b64 s[0:1], s[2:3], s[0:1]
	v_addc_co_u32_e64 v1, s[0:1], 0, v1, s[0:1]
	v_cmp_gt_i32_e64 s[0:1], 31, v5
	v_lshrrev_b32_e32 v9, 16, v17
	v_cndmask_b32_e64 v8, v22, v1, s[0:1]
	v_mul_f16_sdwa v1, v96, v9 dst_sel:DWORD dst_unused:UNUSED_PAD src0_sel:WORD_1 src1_sel:DWORD
	v_fma_f16 v1, v96, v17, v1
	v_cvt_f32_f16_e32 v1, v1
	v_cmp_ne_u32_e64 s[0:1], 0, v0
	v_cndmask_b32_e64 v0, 0, 1, s[0:1]
	v_lshl_or_b32 v10, v0, 9, v22
	v_cvt_f64_f32_e32 v[0:1], v1
	v_cmp_eq_u32_e64 s[0:1], s17, v5
	v_cndmask_b32_e64 v5, v8, v10, s[0:1]
	v_lshrrev_b32_e32 v6, 16, v6
	v_mul_f64 v[0:1], v[0:1], s[12:13]
	v_add_co_u32_e64 v3, s[0:1], s10, v3
	v_and_or_b32 v5, v6, s18, v5
	v_and_b32_e32 v6, 0xffff, v7
	v_addc_co_u32_e64 v4, s[0:1], v4, v2, s[0:1]
	v_lshl_or_b32 v5, v5, 16, v6
	v_and_or_b32 v0, v1, s19, v0
	v_cmp_ne_u32_e64 s[0:1], 0, v0
	global_store_dword v[3:4], v5, off
	v_cndmask_b32_e64 v0, 0, 1, s[0:1]
	v_lshrrev_b32_e32 v5, 8, v1
	v_bfe_u32 v6, v1, 20, 11
	v_and_or_b32 v0, v5, s16, v0
	v_sub_u32_e32 v7, 0x3f1, v6
	v_or_b32_e32 v5, 0x1000, v0
	v_med3_i32 v7, v7, 0, 13
	v_lshrrev_b32_e32 v8, v7, v5
	v_lshlrev_b32_e32 v7, v7, v8
	v_cmp_ne_u32_e64 s[0:1], v7, v5
	v_cndmask_b32_e64 v5, 0, 1, s[0:1]
	v_or_b32_e32 v5, v8, v5
	v_mul_f16_sdwa v8, v96, v17 dst_sel:DWORD dst_unused:UNUSED_PAD src0_sel:WORD_1 src1_sel:DWORD
	v_fma_f16 v8, v96, v9, -v8
	v_add_u32_e32 v7, 0xfffffc10, v6
	v_cvt_f32_f16_e32 v8, v8
	v_lshl_or_b32 v6, v7, 12, v0
	v_cmp_gt_i32_e64 s[0:1], 1, v7
	v_cndmask_b32_e64 v5, v6, v5, s[0:1]
	v_and_b32_e32 v6, 7, v5
	v_cmp_lt_i32_e64 s[0:1], 5, v6
	v_cmp_eq_u32_e64 s[2:3], 3, v6
	v_lshrrev_b32_e32 v9, 2, v5
	v_cvt_f64_f32_e32 v[5:6], v8
	s_or_b64 s[0:1], s[2:3], s[0:1]
	v_addc_co_u32_e64 v8, s[0:1], 0, v9, s[0:1]
	v_mul_f64 v[5:6], v[5:6], s[12:13]
	v_cmp_gt_i32_e64 s[0:1], 31, v7
	v_cndmask_b32_e64 v8, v22, v8, s[0:1]
	v_cmp_ne_u32_e64 s[0:1], 0, v0
	v_cndmask_b32_e64 v0, 0, 1, s[0:1]
	v_lshl_or_b32 v0, v0, 9, v22
	v_cmp_eq_u32_e64 s[0:1], s17, v7
	v_cndmask_b32_e64 v0, v8, v0, s[0:1]
	v_lshrrev_b32_e32 v1, 16, v1
	v_and_or_b32 v7, v1, s18, v0
	v_and_or_b32 v0, v6, s19, v5
	v_cmp_ne_u32_e64 s[0:1], 0, v0
	v_cndmask_b32_e64 v0, 0, 1, s[0:1]
	v_lshrrev_b32_e32 v1, 8, v6
	v_bfe_u32 v5, v6, 20, 11
	v_and_or_b32 v0, v1, s16, v0
	v_sub_u32_e32 v8, 0x3f1, v5
	v_or_b32_e32 v1, 0x1000, v0
	v_med3_i32 v8, v8, 0, 13
	v_lshrrev_b32_e32 v9, v8, v1
	v_lshlrev_b32_e32 v8, v8, v9
	v_cmp_ne_u32_e64 s[0:1], v8, v1
	v_cndmask_b32_e64 v1, 0, 1, s[0:1]
	v_add_u32_e32 v5, 0xfffffc10, v5
	v_or_b32_e32 v1, v9, v1
	v_lshl_or_b32 v8, v5, 12, v0
	v_cmp_gt_i32_e64 s[0:1], 1, v5
	v_cndmask_b32_e64 v1, v8, v1, s[0:1]
	v_and_b32_e32 v8, 7, v1
	v_cmp_lt_i32_e64 s[0:1], 5, v8
	v_cmp_eq_u32_e64 s[2:3], 3, v8
	v_lshrrev_b32_e32 v1, 2, v1
	s_or_b64 s[0:1], s[2:3], s[0:1]
	v_addc_co_u32_e64 v1, s[0:1], 0, v1, s[0:1]
	v_cmp_gt_i32_e64 s[0:1], 31, v5
	v_lshrrev_b32_e32 v9, 16, v19
	v_cndmask_b32_e64 v8, v22, v1, s[0:1]
	v_mul_f16_sdwa v1, v94, v9 dst_sel:DWORD dst_unused:UNUSED_PAD src0_sel:WORD_1 src1_sel:DWORD
	v_fma_f16 v1, v94, v19, v1
	v_cvt_f32_f16_e32 v1, v1
	v_cmp_ne_u32_e64 s[0:1], 0, v0
	v_cndmask_b32_e64 v0, 0, 1, s[0:1]
	v_lshl_or_b32 v10, v0, 9, v22
	v_cvt_f64_f32_e32 v[0:1], v1
	v_cmp_eq_u32_e64 s[0:1], s17, v5
	v_cndmask_b32_e64 v5, v8, v10, s[0:1]
	v_lshrrev_b32_e32 v6, 16, v6
	v_mul_f64 v[0:1], v[0:1], s[12:13]
	v_add_co_u32_e64 v3, s[0:1], s10, v3
	v_and_or_b32 v5, v6, s18, v5
	v_and_b32_e32 v6, 0xffff, v7
	v_addc_co_u32_e64 v4, s[0:1], v4, v2, s[0:1]
	v_lshl_or_b32 v5, v5, 16, v6
	v_and_or_b32 v0, v1, s19, v0
	v_cmp_ne_u32_e64 s[0:1], 0, v0
	global_store_dword v[3:4], v5, off
	v_cndmask_b32_e64 v0, 0, 1, s[0:1]
	v_lshrrev_b32_e32 v5, 8, v1
	v_bfe_u32 v6, v1, 20, 11
	v_and_or_b32 v0, v5, s16, v0
	v_sub_u32_e32 v7, 0x3f1, v6
	v_or_b32_e32 v5, 0x1000, v0
	v_med3_i32 v7, v7, 0, 13
	v_lshrrev_b32_e32 v8, v7, v5
	v_lshlrev_b32_e32 v7, v7, v8
	v_cmp_ne_u32_e64 s[0:1], v7, v5
	v_cndmask_b32_e64 v5, 0, 1, s[0:1]
	v_or_b32_e32 v5, v8, v5
	v_mul_f16_sdwa v8, v94, v19 dst_sel:DWORD dst_unused:UNUSED_PAD src0_sel:WORD_1 src1_sel:DWORD
	v_fma_f16 v8, v94, v9, -v8
	v_add_u32_e32 v7, 0xfffffc10, v6
	v_cvt_f32_f16_e32 v8, v8
	v_lshl_or_b32 v6, v7, 12, v0
	v_cmp_gt_i32_e64 s[0:1], 1, v7
	v_cndmask_b32_e64 v5, v6, v5, s[0:1]
	v_and_b32_e32 v6, 7, v5
	v_cmp_lt_i32_e64 s[0:1], 5, v6
	v_cmp_eq_u32_e64 s[2:3], 3, v6
	v_lshrrev_b32_e32 v9, 2, v5
	v_cvt_f64_f32_e32 v[5:6], v8
	s_or_b64 s[0:1], s[2:3], s[0:1]
	v_addc_co_u32_e64 v8, s[0:1], 0, v9, s[0:1]
	v_mul_f64 v[5:6], v[5:6], s[12:13]
	v_cmp_gt_i32_e64 s[0:1], 31, v7
	v_cndmask_b32_e64 v8, v22, v8, s[0:1]
	v_cmp_ne_u32_e64 s[0:1], 0, v0
	v_cndmask_b32_e64 v0, 0, 1, s[0:1]
	v_lshl_or_b32 v0, v0, 9, v22
	v_cmp_eq_u32_e64 s[0:1], s17, v7
	v_cndmask_b32_e64 v0, v8, v0, s[0:1]
	v_lshrrev_b32_e32 v1, 16, v1
	v_and_or_b32 v7, v1, s18, v0
	v_and_or_b32 v0, v6, s19, v5
	v_cmp_ne_u32_e64 s[0:1], 0, v0
	v_cndmask_b32_e64 v0, 0, 1, s[0:1]
	v_lshrrev_b32_e32 v1, 8, v6
	v_bfe_u32 v5, v6, 20, 11
	v_and_or_b32 v0, v1, s16, v0
	v_sub_u32_e32 v8, 0x3f1, v5
	v_or_b32_e32 v1, 0x1000, v0
	v_med3_i32 v8, v8, 0, 13
	v_lshrrev_b32_e32 v9, v8, v1
	v_lshlrev_b32_e32 v8, v8, v9
	v_cmp_ne_u32_e64 s[0:1], v8, v1
	v_cndmask_b32_e64 v1, 0, 1, s[0:1]
	v_add_u32_e32 v5, 0xfffffc10, v5
	v_or_b32_e32 v1, v9, v1
	v_lshl_or_b32 v8, v5, 12, v0
	v_cmp_gt_i32_e64 s[0:1], 1, v5
	v_cndmask_b32_e64 v1, v8, v1, s[0:1]
	v_and_b32_e32 v8, 7, v1
	v_cmp_lt_i32_e64 s[0:1], 5, v8
	v_cmp_eq_u32_e64 s[2:3], 3, v8
	v_lshrrev_b32_e32 v1, 2, v1
	s_or_b64 s[0:1], s[2:3], s[0:1]
	v_addc_co_u32_e64 v1, s[0:1], 0, v1, s[0:1]
	v_cmp_gt_i32_e64 s[0:1], 31, v5
	v_lshrrev_b32_e32 v9, 16, v21
	v_cndmask_b32_e64 v8, v22, v1, s[0:1]
	v_mul_f16_sdwa v1, v93, v9 dst_sel:DWORD dst_unused:UNUSED_PAD src0_sel:WORD_1 src1_sel:DWORD
	v_fma_f16 v1, v93, v21, v1
	v_cvt_f32_f16_e32 v1, v1
	v_cmp_ne_u32_e64 s[0:1], 0, v0
	v_cndmask_b32_e64 v0, 0, 1, s[0:1]
	v_lshl_or_b32 v10, v0, 9, v22
	v_cvt_f64_f32_e32 v[0:1], v1
	v_cmp_eq_u32_e64 s[0:1], s17, v5
	v_cndmask_b32_e64 v5, v8, v10, s[0:1]
	v_lshrrev_b32_e32 v6, 16, v6
	v_mul_f64 v[0:1], v[0:1], s[12:13]
	v_add_co_u32_e64 v3, s[0:1], s10, v3
	v_and_or_b32 v5, v6, s18, v5
	v_and_b32_e32 v6, 0xffff, v7
	v_addc_co_u32_e64 v4, s[0:1], v4, v2, s[0:1]
	v_lshl_or_b32 v5, v5, 16, v6
	v_and_or_b32 v0, v1, s19, v0
	v_cmp_ne_u32_e64 s[0:1], 0, v0
	global_store_dword v[3:4], v5, off
	v_cndmask_b32_e64 v0, 0, 1, s[0:1]
	v_lshrrev_b32_e32 v5, 8, v1
	v_bfe_u32 v6, v1, 20, 11
	v_and_or_b32 v0, v5, s16, v0
	v_sub_u32_e32 v7, 0x3f1, v6
	v_or_b32_e32 v5, 0x1000, v0
	v_med3_i32 v7, v7, 0, 13
	v_lshrrev_b32_e32 v8, v7, v5
	v_lshlrev_b32_e32 v7, v7, v8
	v_cmp_ne_u32_e64 s[0:1], v7, v5
	v_cndmask_b32_e64 v5, 0, 1, s[0:1]
	v_or_b32_e32 v5, v8, v5
	v_mul_f16_sdwa v8, v93, v21 dst_sel:DWORD dst_unused:UNUSED_PAD src0_sel:WORD_1 src1_sel:DWORD
	v_fma_f16 v8, v93, v9, -v8
	v_add_u32_e32 v7, 0xfffffc10, v6
	v_cvt_f32_f16_e32 v8, v8
	v_lshl_or_b32 v6, v7, 12, v0
	v_cmp_gt_i32_e64 s[0:1], 1, v7
	v_cndmask_b32_e64 v5, v6, v5, s[0:1]
	v_and_b32_e32 v6, 7, v5
	v_cmp_lt_i32_e64 s[0:1], 5, v6
	v_cmp_eq_u32_e64 s[2:3], 3, v6
	v_lshrrev_b32_e32 v9, 2, v5
	v_cvt_f64_f32_e32 v[5:6], v8
	s_or_b64 s[0:1], s[2:3], s[0:1]
	v_addc_co_u32_e64 v8, s[0:1], 0, v9, s[0:1]
	v_mul_f64 v[5:6], v[5:6], s[12:13]
	v_cmp_gt_i32_e64 s[0:1], 31, v7
	v_cndmask_b32_e64 v8, v22, v8, s[0:1]
	v_cmp_ne_u32_e64 s[0:1], 0, v0
	v_cndmask_b32_e64 v0, 0, 1, s[0:1]
	v_lshl_or_b32 v0, v0, 9, v22
	v_cmp_eq_u32_e64 s[0:1], s17, v7
	v_cndmask_b32_e64 v0, v8, v0, s[0:1]
	v_lshrrev_b32_e32 v1, 16, v1
	v_and_or_b32 v0, v1, s18, v0
	v_and_or_b32 v1, v6, s19, v5
	v_cmp_ne_u32_e64 s[0:1], 0, v1
	v_cndmask_b32_e64 v1, 0, 1, s[0:1]
	v_lshrrev_b32_e32 v5, 8, v6
	v_bfe_u32 v7, v6, 20, 11
	v_and_or_b32 v1, v5, s16, v1
	v_sub_u32_e32 v8, 0x3f1, v7
	v_or_b32_e32 v5, 0x1000, v1
	v_med3_i32 v8, v8, 0, 13
	v_lshrrev_b32_e32 v9, v8, v5
	v_lshlrev_b32_e32 v8, v8, v9
	v_cmp_ne_u32_e64 s[0:1], v8, v5
	v_cndmask_b32_e64 v5, 0, 1, s[0:1]
	v_add_u32_e32 v7, 0xfffffc10, v7
	v_or_b32_e32 v5, v9, v5
	v_lshl_or_b32 v8, v7, 12, v1
	v_cmp_gt_i32_e64 s[0:1], 1, v7
	v_cndmask_b32_e64 v5, v8, v5, s[0:1]
	v_and_b32_e32 v8, 7, v5
	v_cmp_lt_i32_e64 s[0:1], 5, v8
	v_cmp_eq_u32_e64 s[2:3], 3, v8
	v_lshrrev_b32_e32 v5, 2, v5
	s_or_b64 s[0:1], s[2:3], s[0:1]
	v_addc_co_u32_e64 v5, s[0:1], 0, v5, s[0:1]
	v_cmp_gt_i32_e64 s[0:1], 31, v7
	v_cndmask_b32_e64 v5, v22, v5, s[0:1]
	v_cmp_ne_u32_e64 s[0:1], 0, v1
	v_cndmask_b32_e64 v1, 0, 1, s[0:1]
	v_lshl_or_b32 v1, v1, 9, v22
	v_cmp_eq_u32_e64 s[0:1], s17, v7
	v_cndmask_b32_e64 v1, v5, v1, s[0:1]
	v_lshrrev_b32_e32 v5, 16, v6
	v_and_or_b32 v1, v5, s18, v1
	v_and_b32_e32 v0, 0xffff, v0
	v_lshl_or_b32 v5, v1, 16, v0
	v_add_co_u32_e64 v0, s[0:1], s10, v3
	v_addc_co_u32_e64 v1, s[0:1], v4, v2, s[0:1]
	global_store_dword v[0:1], v5, off
	s_and_b64 exec, exec, vcc
	s_cbranch_execz .LBB0_15
; %bb.14:
	global_load_dword v4, v[56:57], off offset:440
	ds_read2_b32 v[2:3], v91 offset0:110 offset1:235
	v_add_co_u32_e32 v8, vcc, s4, v0
	s_waitcnt lgkmcnt(0)
	v_lshrrev_b32_e32 v5, 16, v2
	s_waitcnt vmcnt(0)
	v_mul_f16_sdwa v6, v5, v4 dst_sel:DWORD dst_unused:UNUSED_PAD src0_sel:DWORD src1_sel:WORD_1
	v_fma_f16 v6, v2, v4, v6
	v_mul_f16_sdwa v2, v2, v4 dst_sel:DWORD dst_unused:UNUSED_PAD src0_sel:DWORD src1_sel:WORD_1
	v_cvt_f32_f16_e32 v6, v6
	v_fma_f16 v2, v4, v5, -v2
	v_cvt_f32_f16_e32 v2, v2
	v_cvt_f64_f32_e32 v[4:5], v6
	v_cvt_f64_f32_e32 v[6:7], v2
	v_mov_b32_e32 v2, s5
	v_mul_f64 v[4:5], v[4:5], s[12:13]
	v_addc_co_u32_e32 v9, vcc, v1, v2, vcc
	v_mul_f64 v[6:7], v[6:7], s[12:13]
	v_and_or_b32 v0, v5, s19, v4
	v_lshrrev_b32_e32 v1, 8, v5
	v_bfe_u32 v2, v5, 20, 11
	v_lshrrev_b32_e32 v4, 16, v5
	v_and_or_b32 v5, v7, s19, v6
	v_cmp_ne_u32_e32 vcc, 0, v0
	v_cndmask_b32_e64 v0, 0, 1, vcc
	v_cmp_ne_u32_e32 vcc, 0, v5
	v_lshrrev_b32_e32 v6, 8, v7
	v_bfe_u32 v10, v7, 20, 11
	v_sub_u32_e32 v11, 0x3f1, v2
	v_cndmask_b32_e64 v5, 0, 1, vcc
	v_and_or_b32 v0, v1, s16, v0
	v_sub_u32_e32 v12, 0x3f1, v10
	v_med3_i32 v1, v11, 0, 13
	v_and_or_b32 v5, v6, s16, v5
	v_or_b32_e32 v11, 0x1000, v0
	v_add_u32_e32 v2, 0xfffffc10, v2
	v_med3_i32 v6, v12, 0, 13
	v_cmp_ne_u32_e32 vcc, 0, v0
	v_or_b32_e32 v13, 0x1000, v5
	v_lshrrev_b32_e32 v15, v1, v11
	v_add_u32_e32 v10, 0xfffffc10, v10
	v_lshl_or_b32 v12, v2, 12, v0
	v_cndmask_b32_e64 v0, 0, 1, vcc
	v_cmp_ne_u32_e32 vcc, 0, v5
	v_lshrrev_b32_e32 v16, v6, v13
	v_lshlrev_b32_e32 v1, v1, v15
	v_lshl_or_b32 v14, v10, 12, v5
	v_cndmask_b32_e64 v5, 0, 1, vcc
	v_lshlrev_b32_e32 v6, v6, v16
	v_cmp_ne_u32_e32 vcc, v1, v11
	v_cndmask_b32_e64 v1, 0, 1, vcc
	v_cmp_ne_u32_e32 vcc, v6, v13
	v_cndmask_b32_e64 v6, 0, 1, vcc
	v_or_b32_e32 v1, v15, v1
	v_cmp_gt_i32_e32 vcc, 1, v2
	v_cndmask_b32_e32 v1, v12, v1, vcc
	v_or_b32_e32 v6, v16, v6
	v_cmp_gt_i32_e32 vcc, 1, v10
	v_and_b32_e32 v11, 7, v1
	v_cndmask_b32_e32 v6, v14, v6, vcc
	v_cmp_lt_i32_e32 vcc, 5, v11
	v_cmp_eq_u32_e64 s[0:1], 3, v11
	v_lshrrev_b32_e32 v1, 2, v1
	v_and_b32_e32 v12, 7, v6
	s_or_b64 vcc, s[0:1], vcc
	v_cmp_lt_i32_e64 s[2:3], 5, v12
	v_cmp_eq_u32_e64 s[4:5], 3, v12
	v_addc_co_u32_e32 v1, vcc, 0, v1, vcc
	v_lshrrev_b32_e32 v6, 2, v6
	s_or_b64 vcc, s[4:5], s[2:3]
	v_addc_co_u32_e32 v6, vcc, 0, v6, vcc
	v_cmp_gt_i32_e32 vcc, 31, v2
	v_cndmask_b32_e32 v1, v22, v1, vcc
	v_cmp_gt_i32_e32 vcc, 31, v10
	v_lshl_or_b32 v0, v0, 9, v22
	v_cndmask_b32_e32 v6, v22, v6, vcc
	v_cmp_eq_u32_e32 vcc, s17, v2
	v_lshl_or_b32 v5, v5, 9, v22
	v_cndmask_b32_e32 v0, v1, v0, vcc
	v_cmp_eq_u32_e32 vcc, s17, v10
	v_lshrrev_b32_e32 v7, 16, v7
	v_cndmask_b32_e32 v1, v6, v5, vcc
	v_and_or_b32 v0, v4, s18, v0
	v_and_or_b32 v1, v7, s18, v1
	v_and_b32_e32 v0, 0xffff, v0
	v_lshl_or_b32 v0, v1, 16, v0
	global_store_dword v[8:9], v0, off
	global_load_dword v0, v[56:57], off offset:940
	v_lshrrev_b32_e32 v1, 16, v3
	v_add_co_u32_e32 v6, vcc, s10, v8
	s_waitcnt vmcnt(0)
	v_mul_f16_sdwa v2, v1, v0 dst_sel:DWORD dst_unused:UNUSED_PAD src0_sel:DWORD src1_sel:WORD_1
	v_fma_f16 v2, v3, v0, v2
	v_mul_f16_sdwa v3, v3, v0 dst_sel:DWORD dst_unused:UNUSED_PAD src0_sel:DWORD src1_sel:WORD_1
	v_cvt_f32_f16_e32 v2, v2
	v_fma_f16 v0, v0, v1, -v3
	v_cvt_f32_f16_e32 v3, v0
	v_cvt_f64_f32_e32 v[0:1], v2
	v_cvt_f64_f32_e32 v[2:3], v3
	v_mul_f64 v[4:5], v[0:1], s[12:13]
	v_mov_b32_e32 v0, s11
	v_mul_f64 v[1:2], v[2:3], s[12:13]
	v_addc_co_u32_e32 v7, vcc, v9, v0, vcc
	v_and_or_b32 v3, v5, s19, v4
	v_cmp_ne_u32_e32 vcc, 0, v3
	v_and_or_b32 v1, v2, s19, v1
	v_lshrrev_b32_e32 v4, 8, v5
	v_bfe_u32 v8, v5, 20, 11
	v_cndmask_b32_e64 v3, 0, 1, vcc
	v_cmp_ne_u32_e32 vcc, 0, v1
	v_lshrrev_b32_e32 v9, 8, v2
	v_bfe_u32 v10, v2, 20, 11
	v_sub_u32_e32 v11, 0x3f1, v8
	v_cndmask_b32_e64 v1, 0, 1, vcc
	v_and_or_b32 v3, v4, s16, v3
	v_sub_u32_e32 v12, 0x3f1, v10
	v_med3_i32 v4, v11, 0, 13
	v_and_or_b32 v1, v9, s16, v1
	v_or_b32_e32 v11, 0x1000, v3
	v_add_u32_e32 v8, 0xfffffc10, v8
	v_med3_i32 v9, v12, 0, 13
	v_cmp_ne_u32_e32 vcc, 0, v3
	v_or_b32_e32 v13, 0x1000, v1
	v_lshrrev_b32_e32 v15, v4, v11
	v_add_u32_e32 v10, 0xfffffc10, v10
	v_lshl_or_b32 v12, v8, 12, v3
	v_cndmask_b32_e64 v3, 0, 1, vcc
	v_cmp_ne_u32_e32 vcc, 0, v1
	v_lshrrev_b32_e32 v16, v9, v13
	v_lshlrev_b32_e32 v4, v4, v15
	v_lshl_or_b32 v14, v10, 12, v1
	v_cndmask_b32_e64 v1, 0, 1, vcc
	v_lshlrev_b32_e32 v9, v9, v16
	v_cmp_ne_u32_e32 vcc, v4, v11
	v_cndmask_b32_e64 v4, 0, 1, vcc
	v_cmp_ne_u32_e32 vcc, v9, v13
	v_cndmask_b32_e64 v9, 0, 1, vcc
	v_or_b32_e32 v4, v15, v4
	v_cmp_gt_i32_e32 vcc, 1, v8
	v_cndmask_b32_e32 v4, v12, v4, vcc
	v_or_b32_e32 v9, v16, v9
	v_cmp_gt_i32_e32 vcc, 1, v10
	v_and_b32_e32 v11, 7, v4
	v_cndmask_b32_e32 v9, v14, v9, vcc
	v_cmp_lt_i32_e32 vcc, 5, v11
	v_cmp_eq_u32_e64 s[0:1], 3, v11
	v_lshrrev_b32_e32 v4, 2, v4
	v_and_b32_e32 v12, 7, v9
	s_or_b64 vcc, s[0:1], vcc
	v_cmp_lt_i32_e64 s[2:3], 5, v12
	v_cmp_eq_u32_e64 s[4:5], 3, v12
	v_addc_co_u32_e32 v4, vcc, 0, v4, vcc
	v_lshrrev_b32_e32 v9, 2, v9
	s_or_b64 vcc, s[4:5], s[2:3]
	v_addc_co_u32_e32 v9, vcc, 0, v9, vcc
	v_cmp_gt_i32_e32 vcc, 31, v8
	v_cndmask_b32_e32 v4, v22, v4, vcc
	v_cmp_gt_i32_e32 vcc, 31, v10
	v_lshl_or_b32 v3, v3, 9, v22
	v_cndmask_b32_e32 v9, v22, v9, vcc
	v_cmp_eq_u32_e32 vcc, s17, v8
	v_lshrrev_b32_e32 v5, 16, v5
	v_lshl_or_b32 v1, v1, 9, v22
	v_cndmask_b32_e32 v3, v4, v3, vcc
	v_cmp_eq_u32_e32 vcc, s17, v10
	v_lshrrev_b32_e32 v2, 16, v2
	v_cndmask_b32_e32 v1, v9, v1, vcc
	v_and_or_b32 v3, v5, s18, v3
	v_and_or_b32 v1, v2, s18, v1
	v_and_b32_e32 v2, 0xffff, v3
	v_lshl_or_b32 v1, v1, 16, v2
	global_store_dword v[6:7], v1, off
	global_load_dword v3, v[56:57], off offset:1440
	ds_read2_b32 v[1:2], v62 offset0:104 offset1:229
	s_waitcnt lgkmcnt(0)
	v_lshrrev_b32_e32 v4, 16, v1
	s_waitcnt vmcnt(0)
	v_mul_f16_sdwa v5, v4, v3 dst_sel:DWORD dst_unused:UNUSED_PAD src0_sel:DWORD src1_sel:WORD_1
	v_fma_f16 v5, v1, v3, v5
	v_mul_f16_sdwa v1, v1, v3 dst_sel:DWORD dst_unused:UNUSED_PAD src0_sel:DWORD src1_sel:WORD_1
	v_cvt_f32_f16_e32 v5, v5
	v_fma_f16 v1, v3, v4, -v1
	v_cvt_f32_f16_e32 v1, v1
	v_cvt_f64_f32_e32 v[3:4], v5
	v_add_co_u32_e32 v5, vcc, s10, v6
	v_cvt_f64_f32_e32 v[8:9], v1
	v_mul_f64 v[3:4], v[3:4], s[12:13]
	v_addc_co_u32_e32 v6, vcc, v7, v0, vcc
	v_mul_f64 v[8:9], v[8:9], s[12:13]
	v_and_or_b32 v1, v4, s19, v3
	v_cmp_ne_u32_e32 vcc, 0, v1
	v_lshrrev_b32_e32 v3, 8, v4
	v_and_or_b32 v8, v9, s19, v8
	v_bfe_u32 v7, v4, 20, 11
	v_cndmask_b32_e64 v1, 0, 1, vcc
	v_cmp_ne_u32_e32 vcc, 0, v8
	v_lshrrev_b32_e32 v10, 8, v9
	v_bfe_u32 v11, v9, 20, 11
	v_sub_u32_e32 v12, 0x3f1, v7
	v_cndmask_b32_e64 v8, 0, 1, vcc
	v_and_or_b32 v1, v3, s16, v1
	v_sub_u32_e32 v13, 0x3f1, v11
	v_med3_i32 v3, v12, 0, 13
	v_and_or_b32 v8, v10, s16, v8
	v_or_b32_e32 v12, 0x1000, v1
	v_add_u32_e32 v7, 0xfffffc10, v7
	v_med3_i32 v10, v13, 0, 13
	v_cmp_ne_u32_e32 vcc, 0, v1
	v_or_b32_e32 v14, 0x1000, v8
	v_lshrrev_b32_e32 v16, v3, v12
	v_add_u32_e32 v11, 0xfffffc10, v11
	v_lshl_or_b32 v13, v7, 12, v1
	v_cndmask_b32_e64 v1, 0, 1, vcc
	v_cmp_ne_u32_e32 vcc, 0, v8
	v_lshrrev_b32_e32 v17, v10, v14
	v_lshlrev_b32_e32 v3, v3, v16
	v_lshl_or_b32 v15, v11, 12, v8
	v_cndmask_b32_e64 v8, 0, 1, vcc
	v_lshlrev_b32_e32 v10, v10, v17
	v_cmp_ne_u32_e32 vcc, v3, v12
	v_cndmask_b32_e64 v3, 0, 1, vcc
	v_cmp_ne_u32_e32 vcc, v10, v14
	v_cndmask_b32_e64 v10, 0, 1, vcc
	v_or_b32_e32 v3, v16, v3
	v_cmp_gt_i32_e32 vcc, 1, v7
	v_cndmask_b32_e32 v3, v13, v3, vcc
	v_or_b32_e32 v10, v17, v10
	v_cmp_gt_i32_e32 vcc, 1, v11
	v_and_b32_e32 v12, 7, v3
	v_cndmask_b32_e32 v10, v15, v10, vcc
	v_cmp_lt_i32_e32 vcc, 5, v12
	v_cmp_eq_u32_e64 s[0:1], 3, v12
	v_lshrrev_b32_e32 v3, 2, v3
	v_and_b32_e32 v13, 7, v10
	s_or_b64 vcc, s[0:1], vcc
	v_cmp_lt_i32_e64 s[2:3], 5, v13
	v_cmp_eq_u32_e64 s[4:5], 3, v13
	v_addc_co_u32_e32 v3, vcc, 0, v3, vcc
	v_lshrrev_b32_e32 v10, 2, v10
	s_or_b64 vcc, s[4:5], s[2:3]
	v_addc_co_u32_e32 v10, vcc, 0, v10, vcc
	v_cmp_gt_i32_e32 vcc, 31, v7
	v_cndmask_b32_e32 v3, v22, v3, vcc
	v_cmp_gt_i32_e32 vcc, 31, v11
	v_lshl_or_b32 v1, v1, 9, v22
	v_cndmask_b32_e32 v10, v22, v10, vcc
	v_cmp_eq_u32_e32 vcc, s17, v7
	v_lshrrev_b32_e32 v4, 16, v4
	v_lshl_or_b32 v8, v8, 9, v22
	v_cndmask_b32_e32 v1, v3, v1, vcc
	v_cmp_eq_u32_e32 vcc, s17, v11
	v_lshrrev_b32_e32 v9, 16, v9
	v_cndmask_b32_e32 v3, v10, v8, vcc
	v_and_or_b32 v1, v4, s18, v1
	v_and_or_b32 v3, v9, s18, v3
	v_and_b32_e32 v1, 0xffff, v1
	v_lshl_or_b32 v1, v3, 16, v1
	global_store_dword v[5:6], v1, off
	global_load_dword v1, v[56:57], off offset:1940
	v_lshrrev_b32_e32 v3, 16, v2
	v_add_co_u32_e32 v5, vcc, s10, v5
	v_addc_co_u32_e32 v6, vcc, v6, v0, vcc
	s_waitcnt vmcnt(0)
	v_mul_f16_sdwa v4, v3, v1 dst_sel:DWORD dst_unused:UNUSED_PAD src0_sel:DWORD src1_sel:WORD_1
	v_fma_f16 v4, v2, v1, v4
	v_mul_f16_sdwa v2, v2, v1 dst_sel:DWORD dst_unused:UNUSED_PAD src0_sel:DWORD src1_sel:WORD_1
	v_cvt_f32_f16_e32 v4, v4
	v_fma_f16 v1, v1, v3, -v2
	v_cvt_f32_f16_e32 v3, v1
	v_cvt_f64_f32_e32 v[1:2], v4
	v_cvt_f64_f32_e32 v[3:4], v3
	v_mul_f64 v[1:2], v[1:2], s[12:13]
	v_mul_f64 v[3:4], v[3:4], s[12:13]
	v_and_or_b32 v1, v2, s19, v1
	v_cmp_ne_u32_e32 vcc, 0, v1
	v_and_or_b32 v3, v4, s19, v3
	v_lshrrev_b32_e32 v7, 8, v2
	v_bfe_u32 v8, v2, 20, 11
	v_cndmask_b32_e64 v1, 0, 1, vcc
	v_cmp_ne_u32_e32 vcc, 0, v3
	v_lshrrev_b32_e32 v9, 8, v4
	v_bfe_u32 v10, v4, 20, 11
	v_sub_u32_e32 v11, 0x3f1, v8
	v_cndmask_b32_e64 v3, 0, 1, vcc
	v_and_or_b32 v1, v7, s16, v1
	v_sub_u32_e32 v12, 0x3f1, v10
	v_med3_i32 v7, v11, 0, 13
	v_and_or_b32 v3, v9, s16, v3
	v_or_b32_e32 v11, 0x1000, v1
	v_add_u32_e32 v8, 0xfffffc10, v8
	v_med3_i32 v9, v12, 0, 13
	v_cmp_ne_u32_e32 vcc, 0, v1
	v_or_b32_e32 v13, 0x1000, v3
	v_lshrrev_b32_e32 v15, v7, v11
	v_add_u32_e32 v10, 0xfffffc10, v10
	v_lshl_or_b32 v12, v8, 12, v1
	v_cndmask_b32_e64 v1, 0, 1, vcc
	v_cmp_ne_u32_e32 vcc, 0, v3
	v_lshrrev_b32_e32 v16, v9, v13
	v_lshlrev_b32_e32 v7, v7, v15
	v_lshl_or_b32 v14, v10, 12, v3
	v_cndmask_b32_e64 v3, 0, 1, vcc
	v_lshlrev_b32_e32 v9, v9, v16
	v_cmp_ne_u32_e32 vcc, v7, v11
	v_cndmask_b32_e64 v7, 0, 1, vcc
	v_cmp_ne_u32_e32 vcc, v9, v13
	v_cndmask_b32_e64 v9, 0, 1, vcc
	v_or_b32_e32 v7, v15, v7
	v_cmp_gt_i32_e32 vcc, 1, v8
	v_cndmask_b32_e32 v7, v12, v7, vcc
	v_or_b32_e32 v9, v16, v9
	v_cmp_gt_i32_e32 vcc, 1, v10
	v_and_b32_e32 v11, 7, v7
	v_cndmask_b32_e32 v9, v14, v9, vcc
	v_cmp_lt_i32_e32 vcc, 5, v11
	v_cmp_eq_u32_e64 s[0:1], 3, v11
	v_lshrrev_b32_e32 v7, 2, v7
	v_and_b32_e32 v12, 7, v9
	s_or_b64 vcc, s[0:1], vcc
	v_cmp_lt_i32_e64 s[2:3], 5, v12
	v_cmp_eq_u32_e64 s[4:5], 3, v12
	v_addc_co_u32_e32 v7, vcc, 0, v7, vcc
	v_lshrrev_b32_e32 v9, 2, v9
	s_or_b64 vcc, s[4:5], s[2:3]
	v_addc_co_u32_e32 v9, vcc, 0, v9, vcc
	v_cmp_gt_i32_e32 vcc, 31, v8
	v_cndmask_b32_e32 v7, v22, v7, vcc
	v_cmp_gt_i32_e32 vcc, 31, v10
	v_lshl_or_b32 v1, v1, 9, v22
	v_cndmask_b32_e32 v9, v22, v9, vcc
	v_cmp_eq_u32_e32 vcc, s17, v8
	v_lshrrev_b32_e32 v2, 16, v2
	v_lshl_or_b32 v3, v3, 9, v22
	v_cndmask_b32_e32 v1, v7, v1, vcc
	v_cmp_eq_u32_e32 vcc, s17, v10
	v_lshrrev_b32_e32 v4, 16, v4
	v_cndmask_b32_e32 v3, v9, v3, vcc
	v_and_or_b32 v1, v2, s18, v1
	v_and_or_b32 v2, v4, s18, v3
	v_and_b32_e32 v1, 0xffff, v1
	v_lshl_or_b32 v1, v2, 16, v1
	global_store_dword v[5:6], v1, off
	global_load_dword v3, v[56:57], off offset:2440
	ds_read2_b32 v[1:2], v61 offset0:98 offset1:223
	v_add_co_u32_e32 v5, vcc, s10, v5
	v_addc_co_u32_e32 v6, vcc, v6, v0, vcc
	s_waitcnt lgkmcnt(0)
	v_lshrrev_b32_e32 v4, 16, v1
	s_waitcnt vmcnt(0)
	v_mul_f16_sdwa v7, v4, v3 dst_sel:DWORD dst_unused:UNUSED_PAD src0_sel:DWORD src1_sel:WORD_1
	v_fma_f16 v7, v1, v3, v7
	v_mul_f16_sdwa v1, v1, v3 dst_sel:DWORD dst_unused:UNUSED_PAD src0_sel:DWORD src1_sel:WORD_1
	v_cvt_f32_f16_e32 v7, v7
	v_fma_f16 v1, v3, v4, -v1
	v_cvt_f32_f16_e32 v1, v1
	v_cvt_f64_f32_e32 v[3:4], v7
	v_cvt_f64_f32_e32 v[7:8], v1
	v_mul_f64 v[3:4], v[3:4], s[12:13]
	v_mul_f64 v[7:8], v[7:8], s[12:13]
	v_and_or_b32 v1, v4, s19, v3
	v_cmp_ne_u32_e32 vcc, 0, v1
	v_and_or_b32 v7, v8, s19, v7
	v_lshrrev_b32_e32 v3, 8, v4
	v_bfe_u32 v9, v4, 20, 11
	v_cndmask_b32_e64 v1, 0, 1, vcc
	v_cmp_ne_u32_e32 vcc, 0, v7
	v_lshrrev_b32_e32 v10, 8, v8
	v_bfe_u32 v11, v8, 20, 11
	v_sub_u32_e32 v12, 0x3f1, v9
	v_cndmask_b32_e64 v7, 0, 1, vcc
	v_and_or_b32 v1, v3, s16, v1
	v_sub_u32_e32 v13, 0x3f1, v11
	v_med3_i32 v3, v12, 0, 13
	v_and_or_b32 v7, v10, s16, v7
	v_or_b32_e32 v12, 0x1000, v1
	v_add_u32_e32 v9, 0xfffffc10, v9
	v_med3_i32 v10, v13, 0, 13
	v_cmp_ne_u32_e32 vcc, 0, v1
	v_or_b32_e32 v14, 0x1000, v7
	v_lshrrev_b32_e32 v16, v3, v12
	v_add_u32_e32 v11, 0xfffffc10, v11
	v_lshl_or_b32 v13, v9, 12, v1
	v_cndmask_b32_e64 v1, 0, 1, vcc
	v_cmp_ne_u32_e32 vcc, 0, v7
	v_lshrrev_b32_e32 v17, v10, v14
	v_lshlrev_b32_e32 v3, v3, v16
	v_lshl_or_b32 v15, v11, 12, v7
	v_cndmask_b32_e64 v7, 0, 1, vcc
	v_lshlrev_b32_e32 v10, v10, v17
	v_cmp_ne_u32_e32 vcc, v3, v12
	v_cndmask_b32_e64 v3, 0, 1, vcc
	v_cmp_ne_u32_e32 vcc, v10, v14
	v_cndmask_b32_e64 v10, 0, 1, vcc
	v_or_b32_e32 v3, v16, v3
	v_cmp_gt_i32_e32 vcc, 1, v9
	v_cndmask_b32_e32 v3, v13, v3, vcc
	v_or_b32_e32 v10, v17, v10
	v_cmp_gt_i32_e32 vcc, 1, v11
	v_and_b32_e32 v12, 7, v3
	v_cndmask_b32_e32 v10, v15, v10, vcc
	v_cmp_lt_i32_e32 vcc, 5, v12
	v_cmp_eq_u32_e64 s[0:1], 3, v12
	v_lshrrev_b32_e32 v3, 2, v3
	v_and_b32_e32 v13, 7, v10
	s_or_b64 vcc, s[0:1], vcc
	v_cmp_lt_i32_e64 s[2:3], 5, v13
	v_cmp_eq_u32_e64 s[4:5], 3, v13
	v_addc_co_u32_e32 v3, vcc, 0, v3, vcc
	v_lshrrev_b32_e32 v10, 2, v10
	s_or_b64 vcc, s[4:5], s[2:3]
	v_addc_co_u32_e32 v10, vcc, 0, v10, vcc
	v_cmp_gt_i32_e32 vcc, 31, v9
	v_cndmask_b32_e32 v3, v22, v3, vcc
	v_cmp_gt_i32_e32 vcc, 31, v11
	v_lshl_or_b32 v1, v1, 9, v22
	v_cndmask_b32_e32 v10, v22, v10, vcc
	v_cmp_eq_u32_e32 vcc, s17, v9
	v_lshrrev_b32_e32 v4, 16, v4
	v_lshl_or_b32 v7, v7, 9, v22
	v_cndmask_b32_e32 v1, v3, v1, vcc
	v_cmp_eq_u32_e32 vcc, s17, v11
	v_lshrrev_b32_e32 v8, 16, v8
	v_cndmask_b32_e32 v3, v10, v7, vcc
	v_and_or_b32 v1, v4, s18, v1
	v_and_or_b32 v3, v8, s18, v3
	v_and_b32_e32 v1, 0xffff, v1
	v_lshl_or_b32 v1, v3, 16, v1
	global_store_dword v[5:6], v1, off
	global_load_dword v1, v[56:57], off offset:2940
	v_lshrrev_b32_e32 v3, 16, v2
	v_add_co_u32_e32 v5, vcc, s10, v5
	v_addc_co_u32_e32 v6, vcc, v6, v0, vcc
	s_waitcnt vmcnt(0)
	v_mul_f16_sdwa v4, v3, v1 dst_sel:DWORD dst_unused:UNUSED_PAD src0_sel:DWORD src1_sel:WORD_1
	v_fma_f16 v4, v2, v1, v4
	v_mul_f16_sdwa v2, v2, v1 dst_sel:DWORD dst_unused:UNUSED_PAD src0_sel:DWORD src1_sel:WORD_1
	v_cvt_f32_f16_e32 v4, v4
	v_fma_f16 v1, v1, v3, -v2
	v_cvt_f32_f16_e32 v3, v1
	v_cvt_f64_f32_e32 v[1:2], v4
	v_cvt_f64_f32_e32 v[3:4], v3
	v_mul_f64 v[1:2], v[1:2], s[12:13]
	v_mul_f64 v[3:4], v[3:4], s[12:13]
	v_and_or_b32 v1, v2, s19, v1
	v_cmp_ne_u32_e32 vcc, 0, v1
	v_and_or_b32 v3, v4, s19, v3
	v_lshrrev_b32_e32 v7, 8, v2
	v_bfe_u32 v8, v2, 20, 11
	v_cndmask_b32_e64 v1, 0, 1, vcc
	v_cmp_ne_u32_e32 vcc, 0, v3
	v_lshrrev_b32_e32 v9, 8, v4
	v_bfe_u32 v10, v4, 20, 11
	v_sub_u32_e32 v11, 0x3f1, v8
	v_cndmask_b32_e64 v3, 0, 1, vcc
	v_and_or_b32 v1, v7, s16, v1
	v_sub_u32_e32 v12, 0x3f1, v10
	v_med3_i32 v7, v11, 0, 13
	v_and_or_b32 v3, v9, s16, v3
	v_or_b32_e32 v11, 0x1000, v1
	v_add_u32_e32 v8, 0xfffffc10, v8
	v_med3_i32 v9, v12, 0, 13
	v_cmp_ne_u32_e32 vcc, 0, v1
	v_or_b32_e32 v13, 0x1000, v3
	v_lshrrev_b32_e32 v15, v7, v11
	v_add_u32_e32 v10, 0xfffffc10, v10
	v_lshl_or_b32 v12, v8, 12, v1
	v_cndmask_b32_e64 v1, 0, 1, vcc
	v_cmp_ne_u32_e32 vcc, 0, v3
	v_lshrrev_b32_e32 v16, v9, v13
	v_lshlrev_b32_e32 v7, v7, v15
	v_lshl_or_b32 v14, v10, 12, v3
	v_cndmask_b32_e64 v3, 0, 1, vcc
	v_lshlrev_b32_e32 v9, v9, v16
	v_cmp_ne_u32_e32 vcc, v7, v11
	v_cndmask_b32_e64 v7, 0, 1, vcc
	v_cmp_ne_u32_e32 vcc, v9, v13
	v_cndmask_b32_e64 v9, 0, 1, vcc
	v_or_b32_e32 v7, v15, v7
	v_cmp_gt_i32_e32 vcc, 1, v8
	v_cndmask_b32_e32 v7, v12, v7, vcc
	v_or_b32_e32 v9, v16, v9
	v_cmp_gt_i32_e32 vcc, 1, v10
	v_and_b32_e32 v11, 7, v7
	v_cndmask_b32_e32 v9, v14, v9, vcc
	v_cmp_lt_i32_e32 vcc, 5, v11
	v_cmp_eq_u32_e64 s[0:1], 3, v11
	v_lshrrev_b32_e32 v7, 2, v7
	v_and_b32_e32 v12, 7, v9
	s_or_b64 vcc, s[0:1], vcc
	v_cmp_lt_i32_e64 s[2:3], 5, v12
	v_cmp_eq_u32_e64 s[4:5], 3, v12
	v_addc_co_u32_e32 v7, vcc, 0, v7, vcc
	v_lshrrev_b32_e32 v9, 2, v9
	s_or_b64 vcc, s[4:5], s[2:3]
	v_addc_co_u32_e32 v9, vcc, 0, v9, vcc
	v_cmp_gt_i32_e32 vcc, 31, v8
	v_cndmask_b32_e32 v7, v22, v7, vcc
	v_cmp_gt_i32_e32 vcc, 31, v10
	v_lshl_or_b32 v1, v1, 9, v22
	v_cndmask_b32_e32 v9, v22, v9, vcc
	v_cmp_eq_u32_e32 vcc, s17, v8
	v_lshrrev_b32_e32 v2, 16, v2
	v_lshl_or_b32 v3, v3, 9, v22
	v_cndmask_b32_e32 v1, v7, v1, vcc
	v_cmp_eq_u32_e32 vcc, s17, v10
	v_lshrrev_b32_e32 v4, 16, v4
	v_cndmask_b32_e32 v3, v9, v3, vcc
	v_and_or_b32 v1, v2, s18, v1
	v_and_or_b32 v2, v4, s18, v3
	v_and_b32_e32 v1, 0xffff, v1
	v_lshl_or_b32 v1, v2, 16, v1
	global_store_dword v[5:6], v1, off
	global_load_dword v3, v[56:57], off offset:3440
	ds_read2_b32 v[1:2], v60 offset0:92 offset1:217
	v_add_co_u32_e32 v5, vcc, s10, v5
	v_addc_co_u32_e32 v6, vcc, v6, v0, vcc
	s_waitcnt lgkmcnt(0)
	v_lshrrev_b32_e32 v4, 16, v1
	s_waitcnt vmcnt(0)
	v_mul_f16_sdwa v7, v4, v3 dst_sel:DWORD dst_unused:UNUSED_PAD src0_sel:DWORD src1_sel:WORD_1
	v_fma_f16 v7, v1, v3, v7
	v_mul_f16_sdwa v1, v1, v3 dst_sel:DWORD dst_unused:UNUSED_PAD src0_sel:DWORD src1_sel:WORD_1
	v_cvt_f32_f16_e32 v7, v7
	v_fma_f16 v1, v3, v4, -v1
	v_cvt_f32_f16_e32 v1, v1
	v_cvt_f64_f32_e32 v[3:4], v7
	v_cvt_f64_f32_e32 v[7:8], v1
	v_mul_f64 v[3:4], v[3:4], s[12:13]
	v_mul_f64 v[7:8], v[7:8], s[12:13]
	v_and_or_b32 v1, v4, s19, v3
	v_cmp_ne_u32_e32 vcc, 0, v1
	v_and_or_b32 v7, v8, s19, v7
	v_lshrrev_b32_e32 v3, 8, v4
	v_bfe_u32 v9, v4, 20, 11
	v_cndmask_b32_e64 v1, 0, 1, vcc
	v_cmp_ne_u32_e32 vcc, 0, v7
	v_lshrrev_b32_e32 v10, 8, v8
	v_bfe_u32 v11, v8, 20, 11
	v_sub_u32_e32 v12, 0x3f1, v9
	v_cndmask_b32_e64 v7, 0, 1, vcc
	v_and_or_b32 v1, v3, s16, v1
	v_sub_u32_e32 v13, 0x3f1, v11
	v_med3_i32 v3, v12, 0, 13
	v_and_or_b32 v7, v10, s16, v7
	v_or_b32_e32 v12, 0x1000, v1
	v_add_u32_e32 v9, 0xfffffc10, v9
	v_med3_i32 v10, v13, 0, 13
	v_cmp_ne_u32_e32 vcc, 0, v1
	v_or_b32_e32 v14, 0x1000, v7
	v_lshrrev_b32_e32 v16, v3, v12
	v_add_u32_e32 v11, 0xfffffc10, v11
	v_lshl_or_b32 v13, v9, 12, v1
	v_cndmask_b32_e64 v1, 0, 1, vcc
	v_cmp_ne_u32_e32 vcc, 0, v7
	v_lshrrev_b32_e32 v17, v10, v14
	v_lshlrev_b32_e32 v3, v3, v16
	v_lshl_or_b32 v15, v11, 12, v7
	v_cndmask_b32_e64 v7, 0, 1, vcc
	v_lshlrev_b32_e32 v10, v10, v17
	v_cmp_ne_u32_e32 vcc, v3, v12
	v_cndmask_b32_e64 v3, 0, 1, vcc
	v_cmp_ne_u32_e32 vcc, v10, v14
	v_cndmask_b32_e64 v10, 0, 1, vcc
	v_or_b32_e32 v3, v16, v3
	v_cmp_gt_i32_e32 vcc, 1, v9
	v_cndmask_b32_e32 v3, v13, v3, vcc
	v_or_b32_e32 v10, v17, v10
	v_cmp_gt_i32_e32 vcc, 1, v11
	v_and_b32_e32 v12, 7, v3
	v_cndmask_b32_e32 v10, v15, v10, vcc
	v_cmp_lt_i32_e32 vcc, 5, v12
	v_cmp_eq_u32_e64 s[0:1], 3, v12
	v_lshrrev_b32_e32 v3, 2, v3
	v_and_b32_e32 v13, 7, v10
	s_or_b64 vcc, s[0:1], vcc
	v_cmp_lt_i32_e64 s[2:3], 5, v13
	v_cmp_eq_u32_e64 s[4:5], 3, v13
	v_addc_co_u32_e32 v3, vcc, 0, v3, vcc
	v_lshrrev_b32_e32 v10, 2, v10
	s_or_b64 vcc, s[4:5], s[2:3]
	v_addc_co_u32_e32 v10, vcc, 0, v10, vcc
	v_cmp_gt_i32_e32 vcc, 31, v9
	v_cndmask_b32_e32 v3, v22, v3, vcc
	v_cmp_gt_i32_e32 vcc, 31, v11
	v_lshl_or_b32 v1, v1, 9, v22
	v_cndmask_b32_e32 v10, v22, v10, vcc
	v_cmp_eq_u32_e32 vcc, s17, v9
	v_lshrrev_b32_e32 v4, 16, v4
	v_lshl_or_b32 v7, v7, 9, v22
	v_cndmask_b32_e32 v1, v3, v1, vcc
	v_cmp_eq_u32_e32 vcc, s17, v11
	v_lshrrev_b32_e32 v8, 16, v8
	v_cndmask_b32_e32 v3, v10, v7, vcc
	v_and_or_b32 v1, v4, s18, v1
	v_and_or_b32 v3, v8, s18, v3
	v_and_b32_e32 v1, 0xffff, v1
	v_lshl_or_b32 v1, v3, 16, v1
	global_store_dword v[5:6], v1, off
	global_load_dword v1, v[56:57], off offset:3940
	v_lshrrev_b32_e32 v3, 16, v2
	v_add_co_u32_e32 v7, vcc, s20, v56
	v_addc_co_u32_e32 v8, vcc, 0, v57, vcc
	v_add_co_u32_e32 v5, vcc, s10, v5
	v_addc_co_u32_e32 v6, vcc, v6, v0, vcc
	s_waitcnt vmcnt(0)
	v_mul_f16_sdwa v4, v3, v1 dst_sel:DWORD dst_unused:UNUSED_PAD src0_sel:DWORD src1_sel:WORD_1
	v_fma_f16 v4, v2, v1, v4
	v_mul_f16_sdwa v2, v2, v1 dst_sel:DWORD dst_unused:UNUSED_PAD src0_sel:DWORD src1_sel:WORD_1
	v_cvt_f32_f16_e32 v4, v4
	v_fma_f16 v1, v1, v3, -v2
	v_cvt_f32_f16_e32 v3, v1
	v_cvt_f64_f32_e32 v[1:2], v4
	v_cvt_f64_f32_e32 v[3:4], v3
	v_mul_f64 v[1:2], v[1:2], s[12:13]
	v_mul_f64 v[3:4], v[3:4], s[12:13]
	v_and_or_b32 v1, v2, s19, v1
	v_cmp_ne_u32_e32 vcc, 0, v1
	v_and_or_b32 v3, v4, s19, v3
	v_lshrrev_b32_e32 v9, 8, v2
	v_bfe_u32 v10, v2, 20, 11
	v_cndmask_b32_e64 v1, 0, 1, vcc
	v_cmp_ne_u32_e32 vcc, 0, v3
	v_lshrrev_b32_e32 v11, 8, v4
	v_bfe_u32 v12, v4, 20, 11
	v_sub_u32_e32 v13, 0x3f1, v10
	v_cndmask_b32_e64 v3, 0, 1, vcc
	v_and_or_b32 v1, v9, s16, v1
	v_sub_u32_e32 v14, 0x3f1, v12
	v_med3_i32 v9, v13, 0, 13
	v_and_or_b32 v3, v11, s16, v3
	v_or_b32_e32 v13, 0x1000, v1
	v_add_u32_e32 v10, 0xfffffc10, v10
	v_med3_i32 v11, v14, 0, 13
	v_cmp_ne_u32_e32 vcc, 0, v1
	v_or_b32_e32 v15, 0x1000, v3
	v_lshrrev_b32_e32 v17, v9, v13
	v_add_u32_e32 v12, 0xfffffc10, v12
	v_lshl_or_b32 v14, v10, 12, v1
	v_cndmask_b32_e64 v1, 0, 1, vcc
	v_cmp_ne_u32_e32 vcc, 0, v3
	v_lshrrev_b32_e32 v18, v11, v15
	v_lshlrev_b32_e32 v9, v9, v17
	v_lshl_or_b32 v16, v12, 12, v3
	v_cndmask_b32_e64 v3, 0, 1, vcc
	v_lshlrev_b32_e32 v11, v11, v18
	v_cmp_ne_u32_e32 vcc, v9, v13
	v_cndmask_b32_e64 v9, 0, 1, vcc
	v_cmp_ne_u32_e32 vcc, v11, v15
	v_cndmask_b32_e64 v11, 0, 1, vcc
	v_or_b32_e32 v9, v17, v9
	v_cmp_gt_i32_e32 vcc, 1, v10
	v_cndmask_b32_e32 v9, v14, v9, vcc
	v_or_b32_e32 v11, v18, v11
	v_cmp_gt_i32_e32 vcc, 1, v12
	v_and_b32_e32 v13, 7, v9
	v_cndmask_b32_e32 v11, v16, v11, vcc
	v_cmp_lt_i32_e32 vcc, 5, v13
	v_cmp_eq_u32_e64 s[0:1], 3, v13
	v_lshrrev_b32_e32 v9, 2, v9
	v_and_b32_e32 v14, 7, v11
	s_or_b64 vcc, s[0:1], vcc
	v_cmp_lt_i32_e64 s[2:3], 5, v14
	v_cmp_eq_u32_e64 s[4:5], 3, v14
	v_addc_co_u32_e32 v9, vcc, 0, v9, vcc
	v_lshrrev_b32_e32 v11, 2, v11
	s_or_b64 vcc, s[4:5], s[2:3]
	v_addc_co_u32_e32 v11, vcc, 0, v11, vcc
	v_cmp_gt_i32_e32 vcc, 31, v10
	v_cndmask_b32_e32 v9, v22, v9, vcc
	v_cmp_gt_i32_e32 vcc, 31, v12
	v_lshl_or_b32 v1, v1, 9, v22
	v_cndmask_b32_e32 v11, v22, v11, vcc
	v_cmp_eq_u32_e32 vcc, s17, v10
	v_lshrrev_b32_e32 v2, 16, v2
	v_lshl_or_b32 v3, v3, 9, v22
	v_cndmask_b32_e32 v1, v9, v1, vcc
	v_cmp_eq_u32_e32 vcc, s17, v12
	v_lshrrev_b32_e32 v4, 16, v4
	v_cndmask_b32_e32 v3, v11, v3, vcc
	v_and_or_b32 v1, v2, s18, v1
	v_and_or_b32 v2, v4, s18, v3
	v_and_b32_e32 v1, 0xffff, v1
	v_lshl_or_b32 v1, v2, 16, v1
	global_store_dword v[5:6], v1, off
	global_load_dword v3, v[7:8], off offset:344
	ds_read2_b32 v[1:2], v59 offset0:86 offset1:211
	v_add_co_u32_e32 v5, vcc, s10, v5
	v_addc_co_u32_e32 v6, vcc, v6, v0, vcc
	s_waitcnt lgkmcnt(0)
	v_lshrrev_b32_e32 v4, 16, v1
	s_waitcnt vmcnt(0)
	v_mul_f16_sdwa v9, v4, v3 dst_sel:DWORD dst_unused:UNUSED_PAD src0_sel:DWORD src1_sel:WORD_1
	v_fma_f16 v9, v1, v3, v9
	v_mul_f16_sdwa v1, v1, v3 dst_sel:DWORD dst_unused:UNUSED_PAD src0_sel:DWORD src1_sel:WORD_1
	v_cvt_f32_f16_e32 v9, v9
	v_fma_f16 v1, v3, v4, -v1
	v_cvt_f32_f16_e32 v1, v1
	v_cvt_f64_f32_e32 v[3:4], v9
	v_cvt_f64_f32_e32 v[9:10], v1
	v_mul_f64 v[3:4], v[3:4], s[12:13]
	v_mul_f64 v[9:10], v[9:10], s[12:13]
	v_and_or_b32 v1, v4, s19, v3
	v_cmp_ne_u32_e32 vcc, 0, v1
	v_and_or_b32 v9, v10, s19, v9
	v_lshrrev_b32_e32 v3, 8, v4
	v_bfe_u32 v11, v4, 20, 11
	v_cndmask_b32_e64 v1, 0, 1, vcc
	v_cmp_ne_u32_e32 vcc, 0, v9
	v_lshrrev_b32_e32 v12, 8, v10
	v_bfe_u32 v13, v10, 20, 11
	v_sub_u32_e32 v14, 0x3f1, v11
	v_cndmask_b32_e64 v9, 0, 1, vcc
	v_and_or_b32 v1, v3, s16, v1
	v_sub_u32_e32 v15, 0x3f1, v13
	v_med3_i32 v3, v14, 0, 13
	v_and_or_b32 v9, v12, s16, v9
	v_or_b32_e32 v14, 0x1000, v1
	v_add_u32_e32 v11, 0xfffffc10, v11
	v_med3_i32 v12, v15, 0, 13
	v_cmp_ne_u32_e32 vcc, 0, v1
	v_or_b32_e32 v16, 0x1000, v9
	v_lshrrev_b32_e32 v18, v3, v14
	v_add_u32_e32 v13, 0xfffffc10, v13
	v_lshl_or_b32 v15, v11, 12, v1
	v_cndmask_b32_e64 v1, 0, 1, vcc
	v_cmp_ne_u32_e32 vcc, 0, v9
	v_lshrrev_b32_e32 v19, v12, v16
	v_lshlrev_b32_e32 v3, v3, v18
	v_lshl_or_b32 v17, v13, 12, v9
	v_cndmask_b32_e64 v9, 0, 1, vcc
	v_lshlrev_b32_e32 v12, v12, v19
	v_cmp_ne_u32_e32 vcc, v3, v14
	v_cndmask_b32_e64 v3, 0, 1, vcc
	v_cmp_ne_u32_e32 vcc, v12, v16
	v_cndmask_b32_e64 v12, 0, 1, vcc
	v_or_b32_e32 v3, v18, v3
	v_cmp_gt_i32_e32 vcc, 1, v11
	v_cndmask_b32_e32 v3, v15, v3, vcc
	v_or_b32_e32 v12, v19, v12
	v_cmp_gt_i32_e32 vcc, 1, v13
	v_and_b32_e32 v14, 7, v3
	v_cndmask_b32_e32 v12, v17, v12, vcc
	v_cmp_lt_i32_e32 vcc, 5, v14
	v_cmp_eq_u32_e64 s[0:1], 3, v14
	v_lshrrev_b32_e32 v3, 2, v3
	v_and_b32_e32 v15, 7, v12
	s_or_b64 vcc, s[0:1], vcc
	v_cmp_lt_i32_e64 s[2:3], 5, v15
	v_cmp_eq_u32_e64 s[4:5], 3, v15
	v_addc_co_u32_e32 v3, vcc, 0, v3, vcc
	v_lshrrev_b32_e32 v12, 2, v12
	s_or_b64 vcc, s[4:5], s[2:3]
	v_addc_co_u32_e32 v12, vcc, 0, v12, vcc
	v_cmp_gt_i32_e32 vcc, 31, v11
	v_cndmask_b32_e32 v3, v22, v3, vcc
	v_cmp_gt_i32_e32 vcc, 31, v13
	v_lshl_or_b32 v1, v1, 9, v22
	v_cndmask_b32_e32 v12, v22, v12, vcc
	v_cmp_eq_u32_e32 vcc, s17, v11
	v_lshrrev_b32_e32 v4, 16, v4
	v_lshl_or_b32 v9, v9, 9, v22
	v_cndmask_b32_e32 v1, v3, v1, vcc
	v_cmp_eq_u32_e32 vcc, s17, v13
	v_lshrrev_b32_e32 v10, 16, v10
	v_cndmask_b32_e32 v3, v12, v9, vcc
	v_and_or_b32 v1, v4, s18, v1
	v_and_or_b32 v3, v10, s18, v3
	v_and_b32_e32 v1, 0xffff, v1
	v_lshl_or_b32 v1, v3, 16, v1
	global_store_dword v[5:6], v1, off
	global_load_dword v1, v[7:8], off offset:844
	v_lshrrev_b32_e32 v3, 16, v2
	v_add_co_u32_e32 v5, vcc, s10, v5
	v_addc_co_u32_e32 v6, vcc, v6, v0, vcc
	v_or_b32_e32 v7, 0x550, v92
	v_lshlrev_b32_e32 v8, 2, v7
	s_waitcnt vmcnt(0)
	v_mul_f16_sdwa v4, v3, v1 dst_sel:DWORD dst_unused:UNUSED_PAD src0_sel:DWORD src1_sel:WORD_1
	v_fma_f16 v4, v2, v1, v4
	v_mul_f16_sdwa v2, v2, v1 dst_sel:DWORD dst_unused:UNUSED_PAD src0_sel:DWORD src1_sel:WORD_1
	v_cvt_f32_f16_e32 v4, v4
	v_fma_f16 v1, v1, v3, -v2
	v_cvt_f32_f16_e32 v3, v1
	v_cvt_f64_f32_e32 v[1:2], v4
	v_cvt_f64_f32_e32 v[3:4], v3
	v_mul_f64 v[1:2], v[1:2], s[12:13]
	v_mul_f64 v[3:4], v[3:4], s[12:13]
	v_and_or_b32 v0, v2, s19, v1
	v_cmp_ne_u32_e32 vcc, 0, v0
	v_and_or_b32 v3, v4, s19, v3
	v_lshrrev_b32_e32 v1, 8, v2
	v_bfe_u32 v9, v2, 20, 11
	v_cndmask_b32_e64 v0, 0, 1, vcc
	v_cmp_ne_u32_e32 vcc, 0, v3
	v_lshrrev_b32_e32 v10, 8, v4
	v_bfe_u32 v11, v4, 20, 11
	v_sub_u32_e32 v12, 0x3f1, v9
	v_cndmask_b32_e64 v3, 0, 1, vcc
	v_and_or_b32 v0, v1, s16, v0
	v_sub_u32_e32 v13, 0x3f1, v11
	v_med3_i32 v1, v12, 0, 13
	v_and_or_b32 v3, v10, s16, v3
	v_or_b32_e32 v12, 0x1000, v0
	v_add_u32_e32 v9, 0xfffffc10, v9
	v_med3_i32 v10, v13, 0, 13
	v_cmp_ne_u32_e32 vcc, 0, v0
	v_or_b32_e32 v14, 0x1000, v3
	v_lshrrev_b32_e32 v16, v1, v12
	v_add_u32_e32 v11, 0xfffffc10, v11
	v_lshl_or_b32 v13, v9, 12, v0
	v_cndmask_b32_e64 v0, 0, 1, vcc
	v_cmp_ne_u32_e32 vcc, 0, v3
	v_lshrrev_b32_e32 v17, v10, v14
	v_lshlrev_b32_e32 v1, v1, v16
	v_lshl_or_b32 v15, v11, 12, v3
	v_cndmask_b32_e64 v3, 0, 1, vcc
	v_lshlrev_b32_e32 v10, v10, v17
	v_cmp_ne_u32_e32 vcc, v1, v12
	v_cndmask_b32_e64 v1, 0, 1, vcc
	v_cmp_ne_u32_e32 vcc, v10, v14
	v_cndmask_b32_e64 v10, 0, 1, vcc
	v_or_b32_e32 v1, v16, v1
	v_cmp_gt_i32_e32 vcc, 1, v9
	v_cndmask_b32_e32 v1, v13, v1, vcc
	v_or_b32_e32 v10, v17, v10
	v_cmp_gt_i32_e32 vcc, 1, v11
	v_and_b32_e32 v12, 7, v1
	v_cndmask_b32_e32 v10, v15, v10, vcc
	v_cmp_lt_i32_e32 vcc, 5, v12
	v_cmp_eq_u32_e64 s[0:1], 3, v12
	v_lshrrev_b32_e32 v1, 2, v1
	v_and_b32_e32 v13, 7, v10
	s_or_b64 vcc, s[0:1], vcc
	v_cmp_lt_i32_e64 s[2:3], 5, v13
	v_cmp_eq_u32_e64 s[4:5], 3, v13
	v_addc_co_u32_e32 v1, vcc, 0, v1, vcc
	v_lshrrev_b32_e32 v10, 2, v10
	s_or_b64 vcc, s[4:5], s[2:3]
	v_addc_co_u32_e32 v10, vcc, 0, v10, vcc
	v_cmp_gt_i32_e32 vcc, 31, v9
	v_cndmask_b32_e32 v1, v22, v1, vcc
	v_cmp_gt_i32_e32 vcc, 31, v11
	v_lshl_or_b32 v0, v0, 9, v22
	v_cndmask_b32_e32 v10, v22, v10, vcc
	v_cmp_eq_u32_e32 vcc, s17, v9
	v_lshrrev_b32_e32 v2, 16, v2
	v_lshl_or_b32 v3, v3, 9, v22
	v_cndmask_b32_e32 v0, v1, v0, vcc
	v_cmp_eq_u32_e32 vcc, s17, v11
	v_lshrrev_b32_e32 v4, 16, v4
	v_cndmask_b32_e32 v1, v10, v3, vcc
	v_and_or_b32 v0, v2, s18, v0
	v_and_or_b32 v1, v4, s18, v1
	v_and_b32_e32 v0, 0xffff, v0
	v_lshl_or_b32 v0, v1, 16, v0
	global_store_dword v[5:6], v0, off
	global_load_dword v2, v8, s[6:7]
	ds_read_b32 v3, v91 offset:5440
	v_mad_u64_u32 v[0:1], s[0:1], s8, v7, 0
	s_waitcnt lgkmcnt(0)
	v_lshrrev_b32_e32 v4, 16, v3
	s_waitcnt vmcnt(0)
	v_mul_f16_sdwa v5, v4, v2 dst_sel:DWORD dst_unused:UNUSED_PAD src0_sel:DWORD src1_sel:WORD_1
	v_fma_f16 v5, v3, v2, v5
	v_cvt_f32_f16_e32 v5, v5
	v_mul_f16_sdwa v3, v3, v2 dst_sel:DWORD dst_unused:UNUSED_PAD src0_sel:DWORD src1_sel:WORD_1
	v_fma_f16 v2, v2, v4, -v3
	v_cvt_f32_f16_e32 v4, v2
	v_cvt_f64_f32_e32 v[2:3], v5
	v_cvt_f64_f32_e32 v[4:5], v4
	v_mul_f64 v[2:3], v[2:3], s[12:13]
	v_mul_f64 v[4:5], v[4:5], s[12:13]
	v_mad_u64_u32 v[6:7], s[0:1], s9, v7, v[1:2]
	v_and_or_b32 v2, v3, s19, v2
	v_and_or_b32 v4, v5, s19, v4
	v_cmp_ne_u32_e32 vcc, 0, v2
	v_mov_b32_e32 v1, v6
	v_lshrrev_b32_e32 v6, 8, v3
	v_bfe_u32 v7, v3, 20, 11
	v_cndmask_b32_e64 v2, 0, 1, vcc
	v_cmp_ne_u32_e32 vcc, 0, v4
	v_lshrrev_b32_e32 v8, 8, v5
	v_bfe_u32 v9, v5, 20, 11
	v_sub_u32_e32 v10, 0x3f1, v7
	v_cndmask_b32_e64 v4, 0, 1, vcc
	v_and_or_b32 v2, v6, s16, v2
	v_sub_u32_e32 v11, 0x3f1, v9
	v_med3_i32 v6, v10, 0, 13
	v_and_or_b32 v4, v8, s16, v4
	v_or_b32_e32 v10, 0x1000, v2
	v_add_u32_e32 v7, 0xfffffc10, v7
	v_med3_i32 v8, v11, 0, 13
	v_cmp_ne_u32_e32 vcc, 0, v2
	v_or_b32_e32 v12, 0x1000, v4
	v_lshrrev_b32_e32 v14, v6, v10
	v_add_u32_e32 v9, 0xfffffc10, v9
	v_lshl_or_b32 v11, v7, 12, v2
	v_cndmask_b32_e64 v2, 0, 1, vcc
	v_cmp_ne_u32_e32 vcc, 0, v4
	v_lshrrev_b32_e32 v15, v8, v12
	v_lshlrev_b32_e32 v6, v6, v14
	v_lshl_or_b32 v13, v9, 12, v4
	v_cndmask_b32_e64 v4, 0, 1, vcc
	v_lshlrev_b32_e32 v8, v8, v15
	v_cmp_ne_u32_e32 vcc, v6, v10
	v_cndmask_b32_e64 v6, 0, 1, vcc
	v_cmp_ne_u32_e32 vcc, v8, v12
	v_cndmask_b32_e64 v8, 0, 1, vcc
	v_or_b32_e32 v6, v14, v6
	v_cmp_gt_i32_e32 vcc, 1, v7
	v_cndmask_b32_e32 v6, v11, v6, vcc
	v_or_b32_e32 v8, v15, v8
	v_cmp_gt_i32_e32 vcc, 1, v9
	v_and_b32_e32 v10, 7, v6
	v_cndmask_b32_e32 v8, v13, v8, vcc
	v_cmp_lt_i32_e32 vcc, 5, v10
	v_cmp_eq_u32_e64 s[0:1], 3, v10
	v_lshrrev_b32_e32 v6, 2, v6
	v_and_b32_e32 v11, 7, v8
	s_or_b64 vcc, s[0:1], vcc
	v_cmp_lt_i32_e64 s[2:3], 5, v11
	v_cmp_eq_u32_e64 s[4:5], 3, v11
	v_addc_co_u32_e32 v6, vcc, 0, v6, vcc
	v_lshrrev_b32_e32 v8, 2, v8
	s_or_b64 vcc, s[4:5], s[2:3]
	v_addc_co_u32_e32 v8, vcc, 0, v8, vcc
	v_cmp_gt_i32_e32 vcc, 31, v7
	v_cndmask_b32_e32 v6, v22, v6, vcc
	v_cmp_gt_i32_e32 vcc, 31, v9
	v_lshl_or_b32 v2, v2, 9, v22
	v_cndmask_b32_e32 v8, v22, v8, vcc
	v_cmp_eq_u32_e32 vcc, s17, v7
	v_lshlrev_b64 v[0:1], 2, v[0:1]
	v_lshrrev_b32_e32 v3, 16, v3
	v_lshl_or_b32 v4, v4, 9, v22
	v_cndmask_b32_e32 v2, v6, v2, vcc
	v_cmp_eq_u32_e32 vcc, s17, v9
	v_lshrrev_b32_e32 v5, 16, v5
	v_cndmask_b32_e32 v4, v8, v4, vcc
	v_and_or_b32 v2, v3, s18, v2
	v_and_or_b32 v3, v5, s18, v4
	v_and_b32_e32 v2, 0xffff, v2
	v_add_co_u32_e32 v0, vcc, v23, v0
	v_lshl_or_b32 v2, v3, 16, v2
	v_addc_co_u32_e32 v1, vcc, v24, v1, vcc
	global_store_dword v[0:1], v2, off
.LBB0_15:
	s_endpgm
	.section	.rodata,"a",@progbits
	.p2align	6, 0x0
	.amdhsa_kernel bluestein_single_back_len1375_dim1_half_op_CI_CI
		.amdhsa_group_segment_fixed_size 5500
		.amdhsa_private_segment_fixed_size 0
		.amdhsa_kernarg_size 104
		.amdhsa_user_sgpr_count 6
		.amdhsa_user_sgpr_private_segment_buffer 1
		.amdhsa_user_sgpr_dispatch_ptr 0
		.amdhsa_user_sgpr_queue_ptr 0
		.amdhsa_user_sgpr_kernarg_segment_ptr 1
		.amdhsa_user_sgpr_dispatch_id 0
		.amdhsa_user_sgpr_flat_scratch_init 0
		.amdhsa_user_sgpr_private_segment_size 0
		.amdhsa_uses_dynamic_stack 0
		.amdhsa_system_sgpr_private_segment_wavefront_offset 0
		.amdhsa_system_sgpr_workgroup_id_x 1
		.amdhsa_system_sgpr_workgroup_id_y 0
		.amdhsa_system_sgpr_workgroup_id_z 0
		.amdhsa_system_sgpr_workgroup_info 0
		.amdhsa_system_vgpr_workitem_id 0
		.amdhsa_next_free_vgpr 184
		.amdhsa_next_free_sgpr 38
		.amdhsa_reserve_vcc 1
		.amdhsa_reserve_flat_scratch 0
		.amdhsa_float_round_mode_32 0
		.amdhsa_float_round_mode_16_64 0
		.amdhsa_float_denorm_mode_32 3
		.amdhsa_float_denorm_mode_16_64 3
		.amdhsa_dx10_clamp 1
		.amdhsa_ieee_mode 1
		.amdhsa_fp16_overflow 0
		.amdhsa_exception_fp_ieee_invalid_op 0
		.amdhsa_exception_fp_denorm_src 0
		.amdhsa_exception_fp_ieee_div_zero 0
		.amdhsa_exception_fp_ieee_overflow 0
		.amdhsa_exception_fp_ieee_underflow 0
		.amdhsa_exception_fp_ieee_inexact 0
		.amdhsa_exception_int_div_zero 0
	.end_amdhsa_kernel
	.text
.Lfunc_end0:
	.size	bluestein_single_back_len1375_dim1_half_op_CI_CI, .Lfunc_end0-bluestein_single_back_len1375_dim1_half_op_CI_CI
                                        ; -- End function
	.section	.AMDGPU.csdata,"",@progbits
; Kernel info:
; codeLenInByte = 54768
; NumSgprs: 42
; NumVgprs: 184
; ScratchSize: 0
; MemoryBound: 0
; FloatMode: 240
; IeeeMode: 1
; LDSByteSize: 5500 bytes/workgroup (compile time only)
; SGPRBlocks: 5
; VGPRBlocks: 45
; NumSGPRsForWavesPerEU: 42
; NumVGPRsForWavesPerEU: 184
; Occupancy: 1
; WaveLimiterHint : 1
; COMPUTE_PGM_RSRC2:SCRATCH_EN: 0
; COMPUTE_PGM_RSRC2:USER_SGPR: 6
; COMPUTE_PGM_RSRC2:TRAP_HANDLER: 0
; COMPUTE_PGM_RSRC2:TGID_X_EN: 1
; COMPUTE_PGM_RSRC2:TGID_Y_EN: 0
; COMPUTE_PGM_RSRC2:TGID_Z_EN: 0
; COMPUTE_PGM_RSRC2:TIDIG_COMP_CNT: 0
	.type	__hip_cuid_4b0b7dd5b55b3b2e,@object ; @__hip_cuid_4b0b7dd5b55b3b2e
	.section	.bss,"aw",@nobits
	.globl	__hip_cuid_4b0b7dd5b55b3b2e
__hip_cuid_4b0b7dd5b55b3b2e:
	.byte	0                               ; 0x0
	.size	__hip_cuid_4b0b7dd5b55b3b2e, 1

	.ident	"AMD clang version 19.0.0git (https://github.com/RadeonOpenCompute/llvm-project roc-6.4.0 25133 c7fe45cf4b819c5991fe208aaa96edf142730f1d)"
	.section	".note.GNU-stack","",@progbits
	.addrsig
	.addrsig_sym __hip_cuid_4b0b7dd5b55b3b2e
	.amdgpu_metadata
---
amdhsa.kernels:
  - .args:
      - .actual_access:  read_only
        .address_space:  global
        .offset:         0
        .size:           8
        .value_kind:     global_buffer
      - .actual_access:  read_only
        .address_space:  global
        .offset:         8
        .size:           8
        .value_kind:     global_buffer
      - .actual_access:  read_only
        .address_space:  global
        .offset:         16
        .size:           8
        .value_kind:     global_buffer
      - .actual_access:  read_only
        .address_space:  global
        .offset:         24
        .size:           8
        .value_kind:     global_buffer
      - .actual_access:  read_only
        .address_space:  global
        .offset:         32
        .size:           8
        .value_kind:     global_buffer
      - .offset:         40
        .size:           8
        .value_kind:     by_value
      - .address_space:  global
        .offset:         48
        .size:           8
        .value_kind:     global_buffer
      - .address_space:  global
        .offset:         56
        .size:           8
        .value_kind:     global_buffer
      - .address_space:  global
        .offset:         64
        .size:           8
        .value_kind:     global_buffer
      - .address_space:  global
        .offset:         72
        .size:           8
        .value_kind:     global_buffer
      - .offset:         80
        .size:           4
        .value_kind:     by_value
      - .address_space:  global
        .offset:         88
        .size:           8
        .value_kind:     global_buffer
      - .address_space:  global
        .offset:         96
        .size:           8
        .value_kind:     global_buffer
    .group_segment_fixed_size: 5500
    .kernarg_segment_align: 8
    .kernarg_segment_size: 104
    .language:       OpenCL C
    .language_version:
      - 2
      - 0
    .max_flat_workgroup_size: 55
    .name:           bluestein_single_back_len1375_dim1_half_op_CI_CI
    .private_segment_fixed_size: 0
    .sgpr_count:     42
    .sgpr_spill_count: 0
    .symbol:         bluestein_single_back_len1375_dim1_half_op_CI_CI.kd
    .uniform_work_group_size: 1
    .uses_dynamic_stack: false
    .vgpr_count:     184
    .vgpr_spill_count: 0
    .wavefront_size: 64
amdhsa.target:   amdgcn-amd-amdhsa--gfx906
amdhsa.version:
  - 1
  - 2
...

	.end_amdgpu_metadata
